;; amdgpu-corpus repo=ROCm/rocFFT kind=compiled arch=gfx1030 opt=O3
	.text
	.amdgcn_target "amdgcn-amd-amdhsa--gfx1030"
	.amdhsa_code_object_version 6
	.protected	bluestein_single_fwd_len1650_dim1_dp_op_CI_CI ; -- Begin function bluestein_single_fwd_len1650_dim1_dp_op_CI_CI
	.globl	bluestein_single_fwd_len1650_dim1_dp_op_CI_CI
	.p2align	8
	.type	bluestein_single_fwd_len1650_dim1_dp_op_CI_CI,@function
bluestein_single_fwd_len1650_dim1_dp_op_CI_CI: ; @bluestein_single_fwd_len1650_dim1_dp_op_CI_CI
; %bb.0:
	s_load_dwordx4 s[12:15], s[4:5], 0x28
	v_mul_u32_u24_e32 v1, 0x254, v0
	s_mov_b64 s[42:43], s[2:3]
	s_mov_b64 s[40:41], s[0:1]
	v_mov_b32_e32 v7, 0
	s_add_u32 s40, s40, s7
	v_lshrrev_b32_e32 v1, 16, v1
	s_addc_u32 s41, s41, 0
	s_mov_b32 s0, exec_lo
	v_add_nc_u32_e32 v6, s6, v1
	s_waitcnt lgkmcnt(0)
	v_cmpx_gt_u64_e64 s[12:13], v[6:7]
	s_cbranch_execz .LBB0_23
; %bb.1:
	s_clause 0x1
	s_load_dwordx4 s[8:11], s[4:5], 0x18
	s_load_dwordx2 s[6:7], s[4:5], 0x0
	v_mul_lo_u16 v1, 0x6e, v1
	v_mov_b32_e32 v7, v6
	v_sub_nc_u16 v90, v0, v1
	v_and_b32_e32 v202, 0xffff, v90
	v_lshlrev_b32_e32 v142, 4, v202
	s_waitcnt lgkmcnt(0)
	s_load_dwordx4 s[0:3], s[8:9], 0x0
	v_add_co_u32 v128, s8, s6, v142
	v_add_co_ci_u32_e64 v129, null, s7, 0, s8
	global_load_dwordx4 v[91:94], v142, s[6:7]
	v_add_co_u32 v0, vcc_lo, 0x800, v128
	v_add_co_ci_u32_e32 v1, vcc_lo, 0, v129, vcc_lo
	v_add_co_u32 v14, vcc_lo, 0x1000, v128
	v_add_co_ci_u32_e32 v15, vcc_lo, 0, v129, vcc_lo
	buffer_store_dword v7, off, s[40:43], 0 offset:160 ; 4-byte Folded Spill
	buffer_store_dword v8, off, s[40:43], 0 offset:164 ; 4-byte Folded Spill
	global_load_dwordx4 v[134:137], v[0:1], off offset:352
	buffer_store_dword v14, off, s[40:43], 0 offset:136 ; 4-byte Folded Spill
	buffer_store_dword v15, off, s[40:43], 0 offset:140 ; 4-byte Folded Spill
	v_add_co_u32 v18, vcc_lo, 0x1800, v128
	v_add_co_ci_u32_e32 v19, vcc_lo, 0, v129, vcc_lo
	v_add_co_u32 v16, vcc_lo, 0x2000, v128
	v_add_co_ci_u32_e32 v17, vcc_lo, 0, v129, vcc_lo
	;; [unrolled: 2-line block ×4, first 2 shown]
	s_waitcnt lgkmcnt(0)
	v_mad_u64_u32 v[2:3], null, s2, v6, 0
	v_mad_u64_u32 v[4:5], null, s0, v202, 0
	s_mul_hi_u32 s6, s0, 0x96
	s_mul_i32 s2, s0, 0x96
	v_mad_u64_u32 v[6:7], null, s3, v6, v[3:4]
	s_mul_i32 s3, s1, 0x96
	s_add_i32 s3, s6, s3
	s_lshl_b64 s[6:7], s[2:3], 4
	v_mad_u64_u32 v[7:8], null, s1, v202, v[5:6]
	v_mov_b32_e32 v3, v6
	v_add_co_u32 v8, vcc_lo, 0x4000, v128
	v_add_co_ci_u32_e32 v9, vcc_lo, 0, v129, vcc_lo
	v_lshlrev_b64 v[2:3], 4, v[2:3]
	v_mov_b32_e32 v5, v7
	v_add_co_u32 v40, vcc_lo, 0x4800, v128
	v_add_co_ci_u32_e32 v41, vcc_lo, 0, v129, vcc_lo
	v_lshlrev_b64 v[4:5], 4, v[4:5]
	v_add_co_u32 v2, vcc_lo, s14, v2
	v_add_co_ci_u32_e32 v3, vcc_lo, s15, v3, vcc_lo
	v_add_co_u32 v2, vcc_lo, v2, v4
	v_add_co_ci_u32_e32 v3, vcc_lo, v3, v5, vcc_lo
	;; [unrolled: 2-line block ×4, first 2 shown]
	global_load_dwordx4 v[130:133], v[14:15], off offset:704
	buffer_store_dword v18, off, s[40:43], 0 offset:144 ; 4-byte Folded Spill
	buffer_store_dword v19, off, s[40:43], 0 offset:148 ; 4-byte Folded Spill
	v_add_co_u32 v14, vcc_lo, v0, s6
	v_add_co_ci_u32_e32 v15, vcc_lo, s7, v1, vcc_lo
	global_load_dwordx4 v[111:114], v[18:19], off offset:1056
	buffer_store_dword v16, off, s[40:43], 0 offset:128 ; 4-byte Folded Spill
	buffer_store_dword v17, off, s[40:43], 0 offset:132 ; 4-byte Folded Spill
	v_add_co_u32 v18, vcc_lo, v14, s6
	v_add_co_ci_u32_e32 v19, vcc_lo, s7, v15, vcc_lo
	v_add_co_u32 v22, vcc_lo, v18, s6
	v_add_co_ci_u32_e32 v23, vcc_lo, s7, v19, vcc_lo
	;; [unrolled: 2-line block ×4, first 2 shown]
	global_load_dwordx4 v[107:110], v[16:17], off offset:1408
	buffer_store_dword v12, off, s[40:43], 0 offset:112 ; 4-byte Folded Spill
	buffer_store_dword v13, off, s[40:43], 0 offset:116 ; 4-byte Folded Spill
	global_load_dwordx4 v[103:106], v[12:13], off offset:1760
	buffer_store_dword v10, off, s[40:43], 0 offset:96 ; 4-byte Folded Spill
	buffer_store_dword v11, off, s[40:43], 0 offset:100 ; 4-byte Folded Spill
	s_clause 0x1
	global_load_dwordx4 v[95:98], v[8:9], off offset:416
	global_load_dwordx4 v[99:102], v[10:11], off offset:64
	s_clause 0x3
	global_load_dwordx4 v[2:5], v[2:3], off
	global_load_dwordx4 v[6:9], v[6:7], off
	;; [unrolled: 1-line block ×4, first 2 shown]
	v_add_co_u32 v0, vcc_lo, v30, s6
	v_add_co_ci_u32_e32 v1, vcc_lo, s7, v31, vcc_lo
	global_load_dwordx4 v[18:21], v[18:19], off
	global_load_dwordx4 v[22:25], v[22:23], off
	;; [unrolled: 1-line block ×5, first 2 shown]
	buffer_store_dword v40, off, s[40:43], 0 offset:104 ; 4-byte Folded Spill
	buffer_store_dword v41, off, s[40:43], 0 offset:108 ; 4-byte Folded Spill
	v_add_co_u32 v38, vcc_lo, v0, s6
	v_add_co_ci_u32_e32 v39, vcc_lo, s7, v1, vcc_lo
	v_add_co_u32 v44, vcc_lo, 0x5000, v128
	v_add_co_ci_u32_e32 v45, vcc_lo, 0, v129, vcc_lo
	;; [unrolled: 2-line block ×4, first 2 shown]
	v_cmp_gt_u16_e32 vcc_lo, 40, v90
	global_load_dwordx4 v[115:118], v[40:41], off offset:768
	global_load_dwordx4 v[38:41], v[38:39], off
	buffer_store_dword v44, off, s[40:43], 0 offset:152 ; 4-byte Folded Spill
	buffer_store_dword v45, off, s[40:43], 0 offset:156 ; 4-byte Folded Spill
	s_waitcnt vmcnt(10)
	v_mul_f64 v[46:47], v[4:5], v[93:94]
	s_waitcnt vmcnt(9)
	v_mul_f64 v[50:51], v[8:9], v[136:137]
	;; [unrolled: 2-line block ×8, first 2 shown]
	v_mul_f64 v[48:49], v[2:3], v[93:94]
	v_mul_f64 v[52:53], v[6:7], v[136:137]
	;; [unrolled: 1-line block ×8, first 2 shown]
	v_fma_f64 v[2:3], v[2:3], v[91:92], v[46:47]
	v_fma_f64 v[6:7], v[6:7], v[134:135], v[50:51]
	;; [unrolled: 1-line block ×8, first 2 shown]
	s_waitcnt vmcnt(1)
	v_mul_f64 v[78:79], v[36:37], v[117:118]
	global_load_dwordx4 v[119:122], v[44:45], off offset:1120
	buffer_store_dword v42, off, s[40:43], 0 offset:120 ; 4-byte Folded Spill
	buffer_store_dword v43, off, s[40:43], 0 offset:124 ; 4-byte Folded Spill
	v_mul_f64 v[80:81], v[34:35], v[117:118]
	global_load_dwordx4 v[123:126], v[42:43], off offset:1472
	global_load_dwordx4 v[42:45], v[0:1], off
	s_waitcnt vmcnt(2)
	v_mul_f64 v[82:83], v[40:41], v[121:122]
	buffer_store_dword v91, off, s[40:43], 0 offset:172 ; 4-byte Folded Spill
	buffer_store_dword v92, off, s[40:43], 0 offset:176 ; 4-byte Folded Spill
	;; [unrolled: 1-line block ×32, first 2 shown]
	v_fma_f64 v[34:35], v[34:35], v[115:116], v[78:79]
	buffer_store_dword v115, off, s[40:43], 0 offset:268 ; 4-byte Folded Spill
	buffer_store_dword v116, off, s[40:43], 0 offset:272 ; 4-byte Folded Spill
	;; [unrolled: 1-line block ×4, first 2 shown]
	v_mul_f64 v[84:85], v[38:39], v[121:122]
	v_fma_f64 v[38:39], v[38:39], v[119:120], v[82:83]
	buffer_store_dword v119, off, s[40:43], 0 offset:284 ; 4-byte Folded Spill
	buffer_store_dword v120, off, s[40:43], 0 offset:288 ; 4-byte Folded Spill
	;; [unrolled: 1-line block ×4, first 2 shown]
	v_fma_f64 v[4:5], v[4:5], v[91:92], -v[48:49]
	s_waitcnt vmcnt(0)
	v_mul_f64 v[86:87], v[44:45], v[125:126]
	v_mul_f64 v[88:89], v[42:43], v[125:126]
	v_fma_f64 v[8:9], v[8:9], v[134:135], -v[52:53]
	v_fma_f64 v[12:13], v[12:13], v[130:131], -v[56:57]
	v_fma_f64 v[16:17], v[16:17], v[111:112], -v[60:61]
	v_fma_f64 v[20:21], v[20:21], v[107:108], -v[64:65]
	v_fma_f64 v[32:33], v[32:33], v[95:96], -v[76:77]
	v_fma_f64 v[24:25], v[24:25], v[103:104], -v[68:69]
	v_fma_f64 v[36:37], v[36:37], v[115:116], -v[80:81]
	v_fma_f64 v[28:29], v[28:29], v[99:100], -v[72:73]
	v_fma_f64 v[40:41], v[40:41], v[119:120], -v[84:85]
	v_fma_f64 v[42:43], v[42:43], v[123:124], v[86:87]
	buffer_store_dword v123, off, s[40:43], 0 offset:300 ; 4-byte Folded Spill
	buffer_store_dword v124, off, s[40:43], 0 offset:304 ; 4-byte Folded Spill
	;; [unrolled: 1-line block ×4, first 2 shown]
	s_load_dwordx2 s[2:3], s[4:5], 0x38
	s_load_dwordx4 s[8:11], s[10:11], 0x0
	ds_write_b128 v142, v[2:5]
	ds_write_b128 v142, v[6:9] offset:2400
	ds_write_b128 v142, v[10:13] offset:4800
	;; [unrolled: 1-line block ×6, first 2 shown]
	v_fma_f64 v[44:45], v[44:45], v[123:124], -v[88:89]
	ds_write_b128 v142, v[30:33] offset:16800
	ds_write_b128 v142, v[34:37] offset:19200
	;; [unrolled: 1-line block ×4, first 2 shown]
	s_and_saveexec_b32 s12, vcc_lo
	s_cbranch_execz .LBB0_3
; %bb.2:
	v_mad_u64_u32 v[16:17], null, 0xffffa920, s0, v[0:1]
	global_load_dwordx4 v[0:3], v[128:129], off offset:1760
	s_clause 0x1
	buffer_load_dword v4, off, s[40:43], 0 offset:136
	buffer_load_dword v5, off, s[40:43], 0 offset:140
	s_mulk_i32 s1, 0xa920
	s_sub_i32 s0, s1, s0
	v_add_nc_u32_e32 v17, s0, v17
	v_add_co_u32 v20, s0, v16, s6
	v_add_co_ci_u32_e64 v21, s0, s7, v17, s0
	v_add_co_u32 v24, s0, v20, s6
	v_add_co_ci_u32_e64 v25, s0, s7, v21, s0
	;; [unrolled: 2-line block ×12, first 2 shown]
	s_waitcnt vmcnt(0)
	global_load_dwordx4 v[4:7], v[4:5], off offset:64
	s_clause 0x1
	buffer_load_dword v8, off, s[40:43], 0 offset:144
	buffer_load_dword v9, off, s[40:43], 0 offset:148
	s_waitcnt vmcnt(0)
	global_load_dwordx4 v[8:11], v[8:9], off offset:416
	s_clause 0x1
	buffer_load_dword v12, off, s[40:43], 0 offset:128
	buffer_load_dword v13, off, s[40:43], 0 offset:132
	global_load_dwordx4 v[16:19], v[16:17], off
	s_waitcnt vmcnt(1)
	global_load_dwordx4 v[12:15], v[12:13], off offset:768
	global_load_dwordx4 v[20:23], v[20:21], off
	global_load_dwordx4 v[24:27], v[24:25], off
	;; [unrolled: 1-line block ×5, first 2 shown]
	global_load_dwordx4 v[40:43], v[40:41], off offset:1472
	global_load_dwordx4 v[44:47], v[44:45], off
	s_clause 0x1
	buffer_load_dword v48, off, s[40:43], 0 offset:112
	buffer_load_dword v49, off, s[40:43], 0 offset:116
	s_waitcnt vmcnt(10)
	v_mul_f64 v[88:89], v[18:19], v[2:3]
	v_mul_f64 v[2:3], v[16:17], v[2:3]
	s_waitcnt vmcnt(8)
	v_mul_f64 v[90:91], v[22:23], v[6:7]
	v_mul_f64 v[6:7], v[20:21], v[6:7]
	;; [unrolled: 3-line block ×4, first 2 shown]
	s_waitcnt vmcnt(3)
	v_mul_f64 v[100:101], v[38:39], v[42:43]
	s_waitcnt vmcnt(0)
	global_load_dwordx4 v[48:51], v[48:49], off offset:1120
	s_clause 0x1
	buffer_load_dword v52, off, s[40:43], 0 offset:96
	buffer_load_dword v53, off, s[40:43], 0 offset:100
	v_mul_f64 v[42:43], v[36:37], v[42:43]
	v_fma_f64 v[14:15], v[16:17], v[0:1], v[88:89]
	v_fma_f64 v[16:17], v[18:19], v[0:1], -v[2:3]
	s_waitcnt vmcnt(0)
	global_load_dwordx4 v[52:55], v[52:53], off offset:1824
	global_load_dwordx4 v[56:59], v[56:57], off
	s_clause 0x1
	buffer_load_dword v60, off, s[40:43], 0 offset:104
	buffer_load_dword v61, off, s[40:43], 0 offset:108
	v_mul_f64 v[98:99], v[34:35], v[50:51]
	v_mul_f64 v[50:51], v[32:33], v[50:51]
	v_fma_f64 v[0:1], v[20:21], v[4:5], v[90:91]
	v_fma_f64 v[2:3], v[22:23], v[4:5], -v[6:7]
	v_fma_f64 v[4:5], v[24:25], v[8:9], v[92:93]
	v_fma_f64 v[6:7], v[26:27], v[8:9], -v[10:11]
	v_fma_f64 v[8:9], v[28:29], v[12:13], v[94:95]
	v_fma_f64 v[10:11], v[30:31], v[12:13], -v[96:97]
	v_fma_f64 v[22:23], v[36:37], v[40:41], v[100:101]
	v_fma_f64 v[24:25], v[38:39], v[40:41], -v[42:43]
	s_waitcnt vmcnt(0)
	global_load_dwordx4 v[60:63], v[60:61], off offset:128
	global_load_dwordx4 v[64:67], v[68:69], off
	s_clause 0x1
	buffer_load_dword v68, off, s[40:43], 0 offset:152
	buffer_load_dword v69, off, s[40:43], 0 offset:156
	v_mul_f64 v[102:103], v[46:47], v[54:55]
	v_mul_f64 v[54:55], v[44:45], v[54:55]
	v_fma_f64 v[18:19], v[32:33], v[48:49], v[98:99]
	v_fma_f64 v[20:21], v[34:35], v[48:49], -v[50:51]
	s_waitcnt vmcnt(0)
	global_load_dwordx4 v[68:71], v[68:69], off offset:480
	global_load_dwordx4 v[72:75], v[72:73], off
	s_clause 0x1
	buffer_load_dword v76, off, s[40:43], 0 offset:120
	buffer_load_dword v77, off, s[40:43], 0 offset:124
	v_mul_f64 v[104:105], v[58:59], v[62:63]
	v_mul_f64 v[62:63], v[56:57], v[62:63]
	v_fma_f64 v[26:27], v[44:45], v[52:53], v[102:103]
	v_fma_f64 v[28:29], v[46:47], v[52:53], -v[54:55]
	s_waitcnt vmcnt(0)
	s_clause 0x1
	global_load_dwordx4 v[76:79], v[76:77], off offset:832
	global_load_dwordx4 v[80:83], v[80:81], off offset:1184
	global_load_dwordx4 v[84:87], v[84:85], off
	v_mul_f64 v[106:107], v[66:67], v[70:71]
	v_mul_f64 v[70:71], v[64:65], v[70:71]
	v_fma_f64 v[30:31], v[56:57], v[60:61], v[104:105]
	v_fma_f64 v[32:33], v[58:59], v[60:61], -v[62:63]
	v_fma_f64 v[34:35], v[64:65], v[68:69], v[106:107]
	v_fma_f64 v[36:37], v[66:67], v[68:69], -v[70:71]
	s_waitcnt vmcnt(2)
	v_mul_f64 v[108:109], v[74:75], v[78:79]
	v_mul_f64 v[78:79], v[72:73], v[78:79]
	s_waitcnt vmcnt(0)
	v_mul_f64 v[110:111], v[86:87], v[82:83]
	v_mul_f64 v[82:83], v[84:85], v[82:83]
	v_fma_f64 v[38:39], v[72:73], v[76:77], v[108:109]
	v_fma_f64 v[40:41], v[74:75], v[76:77], -v[78:79]
	v_fma_f64 v[42:43], v[84:85], v[80:81], v[110:111]
	v_fma_f64 v[44:45], v[86:87], v[80:81], -v[82:83]
	ds_write_b128 v142, v[14:17] offset:1760
	ds_write_b128 v142, v[0:3] offset:4160
	;; [unrolled: 1-line block ×11, first 2 shown]
.LBB0_3:
	s_or_b32 exec_lo, exec_lo, s12
	s_waitcnt lgkmcnt(0)
	s_waitcnt_vscnt null, 0x0
	s_barrier
	buffer_gl0_inv
	ds_read_b128 v[0:3], v142
	ds_read_b128 v[12:15], v142 offset:2400
	ds_read_b128 v[16:19], v142 offset:4800
	;; [unrolled: 1-line block ×10, first 2 shown]
                                        ; implicit-def: $vgpr60_vgpr61
                                        ; implicit-def: $vgpr72_vgpr73
                                        ; implicit-def: $vgpr76_vgpr77
                                        ; implicit-def: $vgpr80_vgpr81
                                        ; implicit-def: $vgpr84_vgpr85
                                        ; implicit-def: $vgpr100_vgpr101
                                        ; implicit-def: $vgpr96_vgpr97
                                        ; implicit-def: $vgpr92_vgpr93
                                        ; implicit-def: $vgpr88_vgpr89
                                        ; implicit-def: $vgpr104_vgpr105
                                        ; implicit-def: $vgpr108_vgpr109
	s_and_saveexec_b32 s0, vcc_lo
	s_cbranch_execz .LBB0_5
; %bb.4:
	ds_read_b128 v[60:63], v142 offset:1760
	ds_read_b128 v[72:75], v142 offset:4160
	;; [unrolled: 1-line block ×11, first 2 shown]
.LBB0_5:
	s_or_b32 exec_lo, exec_lo, s0
	s_waitcnt lgkmcnt(9)
	v_add_f64 v[20:21], v[0:1], v[12:13]
	v_add_f64 v[22:23], v[2:3], v[14:15]
	s_waitcnt lgkmcnt(3)
	v_add_f64 v[24:25], v[52:53], v[56:57]
	v_add_f64 v[26:27], v[54:55], v[58:59]
	v_add_f64 v[36:37], v[52:53], -v[56:57]
	v_add_f64 v[38:39], v[54:55], -v[58:59]
	s_waitcnt lgkmcnt(2)
	v_add_f64 v[34:35], v[48:49], v[44:45]
	v_add_f64 v[32:33], v[50:51], v[46:47]
	s_waitcnt lgkmcnt(1)
	v_add_f64 v[42:43], v[16:17], v[8:9]
	s_mov_b32 s24, 0xf8bb580b
	s_mov_b32 s26, 0x8eee2c13
	;; [unrolled: 1-line block ×10, first 2 shown]
	v_add_f64 v[30:31], v[66:67], -v[70:71]
	v_add_f64 v[28:29], v[64:65], -v[68:69]
	v_add_f64 v[40:41], v[18:19], v[10:11]
	v_add_f64 v[20:21], v[20:21], v[16:17]
	;; [unrolled: 1-line block ×3, first 2 shown]
	s_mov_b32 s0, 0x8764f0ba
	s_mov_b32 s16, 0xd9c712b6
	;; [unrolled: 1-line block ×18, first 2 shown]
	s_waitcnt lgkmcnt(0)
	v_add_f64 v[160:161], v[74:75], -v[110:111]
	v_add_f64 v[162:163], v[72:73], -v[108:109]
	v_add_f64 v[20:21], v[20:21], v[48:49]
	v_add_f64 v[22:23], v[22:23], v[50:51]
	v_add_f64 v[48:49], v[48:49], -v[44:45]
	v_add_f64 v[50:51], v[50:51], -v[46:47]
	;; [unrolled: 1-line block ×10, first 2 shown]
	s_load_dwordx2 s[4:5], s[4:5], 0x8
	v_mul_lo_u16 v143, v202, 11
	v_mul_f64 v[140:141], v[162:163], s[26:27]
	v_add_f64 v[20:21], v[20:21], v[52:53]
	v_add_f64 v[22:23], v[22:23], v[54:55]
	v_add_f64 v[52:53], v[14:15], -v[6:7]
	v_add_f64 v[54:55], v[16:17], -v[8:9]
	v_add_f64 v[16:17], v[12:13], -v[4:5]
	v_add_f64 v[12:13], v[12:13], v[4:5]
	v_add_f64 v[14:15], v[14:15], v[6:7]
	v_mul_f64 v[180:181], v[162:163], s[18:19]
	v_mul_f64 v[182:183], v[166:167], s[36:37]
	v_add_f64 v[20:21], v[20:21], v[64:65]
	v_add_f64 v[22:23], v[22:23], v[66:67]
	;; [unrolled: 1-line block ×8, first 2 shown]
	v_add_f64 v[56:57], v[18:19], -v[10:11]
	v_mul_f64 v[18:19], v[52:53], s[24:25]
	v_mul_f64 v[58:59], v[52:53], s[26:27]
	;; [unrolled: 1-line block ×6, first 2 shown]
	v_add_f64 v[44:45], v[112:113], v[44:45]
	v_add_f64 v[46:47], v[114:115], v[46:47]
	v_fma_f64 v[112:113], v[12:13], s[0:1], -v[18:19]
	v_fma_f64 v[18:19], v[12:13], s[0:1], v[18:19]
	v_fma_f64 v[114:115], v[12:13], s[16:17], -v[58:59]
	v_fma_f64 v[58:59], v[12:13], s[16:17], v[58:59]
	;; [unrolled: 2-line block ×3, first 2 shown]
	v_fma_f64 v[118:119], v[14:15], s[0:1], v[68:69]
	v_fma_f64 v[122:123], v[14:15], s[14:15], v[70:71]
	v_fma_f64 v[70:71], v[14:15], s[14:15], -v[70:71]
	v_add_f64 v[8:9], v[44:45], v[8:9]
	v_add_f64 v[10:11], v[46:47], v[10:11]
	v_mul_f64 v[44:45], v[52:53], s[22:23]
	v_mul_f64 v[46:47], v[16:17], s[26:27]
	;; [unrolled: 1-line block ×4, first 2 shown]
	v_add_f64 v[18:19], v[0:1], v[18:19]
	v_add_f64 v[114:115], v[0:1], v[114:115]
	;; [unrolled: 1-line block ×5, first 2 shown]
	v_mul_f64 v[116:117], v[48:49], s[18:19]
	v_add_f64 v[134:135], v[2:3], v[122:123]
	v_add_f64 v[70:71], v[2:3], v[70:71]
	v_mul_f64 v[122:123], v[30:31], s[22:23]
	v_add_f64 v[4:5], v[8:9], v[4:5]
	v_add_f64 v[6:7], v[10:11], v[6:7]
	v_fma_f64 v[8:9], v[12:13], s[14:15], -v[66:67]
	v_fma_f64 v[10:11], v[14:15], s[0:1], -v[68:69]
	v_fma_f64 v[66:67], v[12:13], s[14:15], v[66:67]
	v_fma_f64 v[68:69], v[14:15], s[16:17], v[46:47]
	v_fma_f64 v[120:121], v[12:13], s[6:7], -v[44:45]
	v_fma_f64 v[46:47], v[14:15], s[16:17], -v[46:47]
	v_fma_f64 v[12:13], v[12:13], s[6:7], v[44:45]
	v_fma_f64 v[44:45], v[14:15], s[12:13], v[52:53]
	v_fma_f64 v[52:53], v[14:15], s[12:13], -v[52:53]
	v_fma_f64 v[124:125], v[14:15], s[6:7], v[16:17]
	v_fma_f64 v[14:15], v[14:15], s[6:7], -v[16:17]
	v_add_f64 v[16:17], v[0:1], v[112:113]
	v_add_f64 v[112:113], v[2:3], v[118:119]
	v_mul_f64 v[118:119], v[38:39], s[20:21]
	v_add_f64 v[132:133], v[0:1], v[8:9]
	v_add_f64 v[10:11], v[2:3], v[10:11]
	;; [unrolled: 1-line block ×6, first 2 shown]
	v_mul_f64 v[120:121], v[36:37], s[20:21]
	v_add_f64 v[130:131], v[2:3], v[44:45]
	v_add_f64 v[52:53], v[2:3], v[52:53]
	;; [unrolled: 1-line block ×5, first 2 shown]
	v_mul_f64 v[2:3], v[56:57], s[26:27]
	v_fma_f64 v[8:9], v[42:43], s[16:17], -v[2:3]
	v_fma_f64 v[2:3], v[42:43], s[16:17], v[2:3]
	v_add_f64 v[8:9], v[8:9], v[16:17]
	v_mul_f64 v[16:17], v[54:55], s[26:27]
	v_add_f64 v[2:3], v[2:3], v[18:19]
	v_fma_f64 v[12:13], v[40:41], s[16:17], v[16:17]
	v_fma_f64 v[16:17], v[40:41], s[16:17], -v[16:17]
	v_add_f64 v[12:13], v[12:13], v[112:113]
	v_mul_f64 v[112:113], v[50:51], s[18:19]
	v_add_f64 v[10:11], v[16:17], v[10:11]
	v_fma_f64 v[14:15], v[34:35], s[12:13], -v[112:113]
	v_fma_f64 v[16:17], v[34:35], s[12:13], v[112:113]
	v_add_f64 v[8:9], v[14:15], v[8:9]
	v_fma_f64 v[14:15], v[32:33], s[12:13], v[116:117]
	v_add_f64 v[2:3], v[16:17], v[2:3]
	v_fma_f64 v[16:17], v[32:33], s[12:13], -v[116:117]
	v_add_f64 v[12:13], v[14:15], v[12:13]
	v_fma_f64 v[14:15], v[24:25], s[14:15], -v[118:119]
	v_add_f64 v[10:11], v[16:17], v[10:11]
	v_fma_f64 v[16:17], v[24:25], s[14:15], v[118:119]
	v_add_f64 v[8:9], v[14:15], v[8:9]
	v_fma_f64 v[14:15], v[26:27], s[14:15], v[120:121]
	v_add_f64 v[2:3], v[16:17], v[2:3]
	v_fma_f64 v[16:17], v[26:27], s[14:15], -v[120:121]
	v_mul_f64 v[120:121], v[38:39], s[34:35]
	v_add_f64 v[14:15], v[14:15], v[12:13]
	v_fma_f64 v[12:13], v[20:21], s[6:7], -v[122:123]
	v_add_f64 v[10:11], v[16:17], v[10:11]
	v_fma_f64 v[16:17], v[20:21], s[6:7], v[122:123]
	v_mul_f64 v[122:123], v[36:37], s[34:35]
	v_add_f64 v[12:13], v[12:13], v[8:9]
	v_mul_f64 v[8:9], v[28:29], s[22:23]
	v_fma_f64 v[18:19], v[22:23], s[6:7], -v[8:9]
	v_fma_f64 v[124:125], v[22:23], s[6:7], v[8:9]
	v_add_f64 v[8:9], v[16:17], v[2:3]
	v_mul_f64 v[2:3], v[56:57], s[20:21]
	v_add_f64 v[10:11], v[18:19], v[10:11]
	v_mul_f64 v[18:19], v[54:55], s[20:21]
	v_add_f64 v[14:15], v[124:125], v[14:15]
	v_fma_f64 v[16:17], v[42:43], s[14:15], -v[2:3]
	v_fma_f64 v[2:3], v[42:43], s[14:15], v[2:3]
	v_mul_f64 v[124:125], v[30:31], s[28:29]
	v_fma_f64 v[112:113], v[40:41], s[14:15], v[18:19]
	v_fma_f64 v[18:19], v[40:41], s[14:15], -v[18:19]
	v_add_f64 v[16:17], v[16:17], v[114:115]
	v_add_f64 v[2:3], v[2:3], v[58:59]
	;; [unrolled: 1-line block ×3, first 2 shown]
	v_mul_f64 v[112:113], v[50:51], s[36:37]
	v_add_f64 v[18:19], v[18:19], v[46:47]
	v_fma_f64 v[114:115], v[34:35], s[6:7], -v[112:113]
	v_fma_f64 v[46:47], v[34:35], s[6:7], v[112:113]
	v_mul_f64 v[112:113], v[50:51], s[30:31]
	v_add_f64 v[16:17], v[114:115], v[16:17]
	v_mul_f64 v[114:115], v[48:49], s[36:37]
	v_add_f64 v[2:3], v[46:47], v[2:3]
	v_fma_f64 v[116:117], v[32:33], s[6:7], v[114:115]
	v_fma_f64 v[46:47], v[32:33], s[6:7], -v[114:115]
	v_fma_f64 v[114:115], v[34:35], s[16:17], -v[112:113]
	v_add_f64 v[68:69], v[116:117], v[68:69]
	v_fma_f64 v[116:117], v[24:25], s[12:13], -v[120:121]
	v_add_f64 v[18:19], v[46:47], v[18:19]
	v_fma_f64 v[46:47], v[24:25], s[12:13], v[120:121]
	v_add_f64 v[16:17], v[116:117], v[16:17]
	v_fma_f64 v[116:117], v[26:27], s[12:13], v[122:123]
	v_add_f64 v[2:3], v[46:47], v[2:3]
	v_fma_f64 v[46:47], v[26:27], s[12:13], -v[122:123]
	v_add_f64 v[68:69], v[116:117], v[68:69]
	v_fma_f64 v[116:117], v[20:21], s[0:1], -v[124:125]
	v_add_f64 v[18:19], v[46:47], v[18:19]
	v_fma_f64 v[46:47], v[20:21], s[0:1], v[124:125]
	v_add_f64 v[116:117], v[116:117], v[16:17]
	v_mul_f64 v[16:17], v[28:29], s[28:29]
	v_fma_f64 v[118:119], v[22:23], s[0:1], v[16:17]
	v_fma_f64 v[58:59], v[22:23], s[0:1], -v[16:17]
	v_add_f64 v[16:17], v[46:47], v[2:3]
	v_mul_f64 v[2:3], v[56:57], s[36:37]
	v_add_f64 v[118:119], v[118:119], v[68:69]
	v_add_f64 v[18:19], v[58:59], v[18:19]
	v_mul_f64 v[58:59], v[54:55], s[36:37]
	v_fma_f64 v[46:47], v[42:43], s[6:7], -v[2:3]
	v_fma_f64 v[2:3], v[42:43], s[6:7], v[2:3]
	v_fma_f64 v[68:69], v[40:41], s[6:7], v[58:59]
	v_add_f64 v[46:47], v[46:47], v[126:127]
	v_fma_f64 v[58:59], v[40:41], s[6:7], -v[58:59]
	v_add_f64 v[2:3], v[2:3], v[64:65]
	v_mul_f64 v[64:65], v[50:51], s[24:25]
	v_mul_f64 v[50:51], v[50:51], s[20:21]
	v_add_f64 v[68:69], v[68:69], v[130:131]
	v_add_f64 v[46:47], v[114:115], v[46:47]
	v_mul_f64 v[114:115], v[48:49], s[30:31]
	v_add_f64 v[52:53], v[58:59], v[52:53]
	v_fma_f64 v[58:59], v[34:35], s[16:17], v[112:113]
	v_mul_f64 v[130:131], v[30:31], s[20:21]
	v_fma_f64 v[120:121], v[32:33], s[16:17], v[114:115]
	v_add_f64 v[2:3], v[58:59], v[2:3]
	v_fma_f64 v[58:59], v[32:33], s[16:17], -v[114:115]
	v_add_f64 v[68:69], v[120:121], v[68:69]
	v_mul_f64 v[120:121], v[38:39], s[24:25]
	v_add_f64 v[52:53], v[58:59], v[52:53]
	v_fma_f64 v[122:123], v[24:25], s[0:1], -v[120:121]
	v_fma_f64 v[58:59], v[24:25], s[0:1], v[120:121]
	v_add_f64 v[46:47], v[122:123], v[46:47]
	v_mul_f64 v[122:123], v[36:37], s[24:25]
	v_add_f64 v[2:3], v[58:59], v[2:3]
	v_fma_f64 v[124:125], v[26:27], s[0:1], v[122:123]
	v_fma_f64 v[58:59], v[26:27], s[0:1], -v[122:123]
	v_add_f64 v[68:69], v[124:125], v[68:69]
	v_fma_f64 v[124:125], v[20:21], s[14:15], -v[130:131]
	v_add_f64 v[52:53], v[58:59], v[52:53]
	v_fma_f64 v[58:59], v[20:21], s[14:15], v[130:131]
	v_add_f64 v[124:125], v[124:125], v[46:47]
	v_mul_f64 v[46:47], v[28:29], s[20:21]
	v_add_f64 v[120:121], v[58:59], v[2:3]
	v_mul_f64 v[2:3], v[56:57], s[34:35]
	v_mul_f64 v[56:57], v[56:57], s[28:29]
	v_fma_f64 v[126:127], v[22:23], s[14:15], v[46:47]
	v_fma_f64 v[46:47], v[22:23], s[14:15], -v[46:47]
	v_add_f64 v[126:127], v[126:127], v[68:69]
	v_add_f64 v[122:123], v[46:47], v[52:53]
	v_fma_f64 v[46:47], v[42:43], s[12:13], -v[2:3]
	v_mul_f64 v[52:53], v[54:55], s[34:35]
	v_fma_f64 v[68:69], v[34:35], s[0:1], -v[64:65]
	v_fma_f64 v[2:3], v[42:43], s[12:13], v[2:3]
	v_fma_f64 v[64:65], v[34:35], s[0:1], v[64:65]
	v_mul_f64 v[54:55], v[54:55], s[28:29]
	v_add_f64 v[46:47], v[46:47], v[132:133]
	v_fma_f64 v[58:59], v[40:41], s[12:13], v[52:53]
	v_fma_f64 v[52:53], v[40:41], s[12:13], -v[52:53]
	v_add_f64 v[2:3], v[2:3], v[66:67]
	v_mul_f64 v[132:133], v[170:171], s[36:37]
	v_fma_f64 v[66:67], v[40:41], s[0:1], v[54:55]
	v_fma_f64 v[40:41], v[40:41], s[0:1], -v[54:55]
	v_mul_f64 v[54:55], v[28:29], s[30:31]
	v_mul_f64 v[28:29], v[28:29], s[18:19]
	v_add_f64 v[46:47], v[68:69], v[46:47]
	v_mul_f64 v[68:69], v[48:49], s[24:25]
	v_add_f64 v[58:59], v[58:59], v[134:135]
	v_add_f64 v[52:53], v[52:53], v[70:71]
	;; [unrolled: 1-line block ×3, first 2 shown]
	v_mul_f64 v[48:49], v[48:49], s[20:21]
	v_add_f64 v[66:67], v[66:67], v[138:139]
	v_add_f64 v[0:1], v[40:41], v[0:1]
	v_fma_f64 v[40:41], v[22:23], s[16:17], v[54:55]
	v_mul_f64 v[134:135], v[164:165], s[20:21]
	v_mul_f64 v[138:139], v[166:167], s[20:21]
	;; [unrolled: 1-line block ×3, first 2 shown]
	v_fma_f64 v[112:113], v[32:33], s[0:1], v[68:69]
	v_fma_f64 v[64:65], v[32:33], s[0:1], -v[68:69]
	v_fma_f64 v[68:69], v[34:35], s[14:15], -v[50:51]
	v_fma_f64 v[34:35], v[34:35], s[14:15], v[50:51]
	v_add_f64 v[58:59], v[112:113], v[58:59]
	v_mul_f64 v[112:113], v[38:39], s[22:23]
	v_add_f64 v[52:53], v[64:65], v[52:53]
	v_mul_f64 v[38:39], v[38:39], s[30:31]
	v_fma_f64 v[64:65], v[24:25], s[6:7], v[112:113]
	v_fma_f64 v[114:115], v[24:25], s[6:7], -v[112:113]
	v_fma_f64 v[50:51], v[24:25], s[16:17], -v[38:39]
	v_add_f64 v[2:3], v[64:65], v[2:3]
	v_fma_f64 v[64:65], v[42:43], s[0:1], -v[56:57]
	v_add_f64 v[46:47], v[114:115], v[46:47]
	v_mul_f64 v[114:115], v[36:37], s[22:23]
	v_fma_f64 v[42:43], v[42:43], s[0:1], v[56:57]
	v_mul_f64 v[56:57], v[30:31], s[30:31]
	v_mul_f64 v[36:37], v[36:37], s[30:31]
	;; [unrolled: 1-line block ×3, first 2 shown]
	v_add_f64 v[64:65], v[64:65], v[136:137]
	v_mul_f64 v[136:137], v[160:161], s[26:27]
	v_fma_f64 v[130:131], v[26:27], s[6:7], v[114:115]
	v_add_f64 v[42:43], v[42:43], v[44:45]
	v_fma_f64 v[44:45], v[20:21], s[16:17], -v[56:57]
	v_add_f64 v[64:65], v[68:69], v[64:65]
	v_fma_f64 v[68:69], v[32:33], s[14:15], v[48:49]
	v_add_f64 v[58:59], v[130:131], v[58:59]
	v_fma_f64 v[32:33], v[32:33], s[14:15], -v[48:49]
	v_fma_f64 v[48:49], v[26:27], s[16:17], v[36:37]
	v_add_f64 v[144:145], v[44:45], v[46:47]
	v_fma_f64 v[44:45], v[20:21], s[16:17], v[56:57]
	v_fma_f64 v[46:47], v[22:23], s[16:17], -v[54:55]
	v_add_f64 v[34:35], v[34:35], v[42:43]
	v_add_f64 v[42:43], v[74:75], v[110:111]
	v_fma_f64 v[54:55], v[22:23], s[12:13], v[28:29]
	v_fma_f64 v[22:23], v[22:23], s[12:13], -v[28:29]
	v_mul_f64 v[28:29], v[164:165], s[26:27]
	v_add_f64 v[56:57], v[86:87], v[94:95]
	v_mul_f64 v[130:131], v[168:169], s[36:37]
	v_add_f64 v[50:51], v[50:51], v[64:65]
	v_add_f64 v[66:67], v[68:69], v[66:67]
	v_fma_f64 v[68:69], v[26:27], s[6:7], -v[114:115]
	v_add_f64 v[146:147], v[40:41], v[58:59]
	v_add_f64 v[0:1], v[32:33], v[0:1]
	v_fma_f64 v[32:33], v[24:25], s[16:17], v[38:39]
	v_fma_f64 v[38:39], v[26:27], s[16:17], -v[36:37]
	v_add_f64 v[36:37], v[72:73], v[108:109]
	v_mul_f64 v[24:25], v[160:161], s[24:25]
	v_mul_f64 v[26:27], v[162:163], s[24:25]
	v_add_f64 v[148:149], v[44:45], v[2:3]
	v_add_f64 v[58:59], v[82:83], v[90:91]
	;; [unrolled: 1-line block ×5, first 2 shown]
	v_fma_f64 v[52:53], v[20:21], s[12:13], -v[30:31]
	v_fma_f64 v[20:21], v[20:21], s[12:13], v[30:31]
	v_add_f64 v[2:3], v[32:33], v[34:35]
	v_add_f64 v[0:1], v[38:39], v[0:1]
	v_mul_f64 v[38:39], v[166:167], s[26:27]
	v_fma_f64 v[30:31], v[36:37], s[0:1], v[24:25]
	v_fma_f64 v[32:33], v[42:43], s[0:1], -v[26:27]
	v_add_f64 v[154:155], v[54:55], v[48:49]
	v_add_f64 v[150:151], v[46:47], v[40:41]
	;; [unrolled: 1-line block ×10, first 2 shown]
	v_mul_f64 v[30:31], v[168:169], s[18:19]
	v_mul_f64 v[40:41], v[170:171], s[18:19]
	v_add_f64 v[48:49], v[84:85], v[92:93]
	v_mul_f64 v[32:33], v[174:175], s[20:21]
	v_add_f64 v[50:51], v[102:103], v[98:99]
	v_fma_f64 v[2:3], v[46:47], s[16:17], v[28:29]
	v_fma_f64 v[22:23], v[52:53], s[16:17], -v[38:39]
	v_fma_f64 v[184:185], v[52:53], s[6:7], v[182:183]
	v_add_f64 v[0:1], v[2:3], v[0:1]
	v_add_f64 v[2:3], v[22:23], v[20:21]
	v_fma_f64 v[20:21], v[54:55], s[12:13], v[30:31]
	v_add_f64 v[0:1], v[20:21], v[0:1]
	v_fma_f64 v[20:21], v[58:59], s[12:13], -v[40:41]
	v_add_f64 v[2:3], v[20:21], v[2:3]
	v_mul_f64 v[20:21], v[172:173], s[20:21]
	v_fma_f64 v[22:23], v[48:49], s[14:15], v[20:21]
	v_add_f64 v[0:1], v[22:23], v[0:1]
	v_fma_f64 v[22:23], v[56:57], s[14:15], -v[32:33]
	v_add_f64 v[2:3], v[22:23], v[2:3]
	v_mul_f64 v[22:23], v[176:177], s[22:23]
	v_fma_f64 v[34:35], v[44:45], s[6:7], v[22:23]
	v_add_f64 v[64:65], v[34:35], v[0:1]
	v_mul_f64 v[34:35], v[178:179], s[22:23]
	v_fma_f64 v[0:1], v[50:51], s[6:7], -v[34:35]
	v_add_f64 v[66:67], v[0:1], v[2:3]
	v_fma_f64 v[0:1], v[36:37], s[16:17], v[136:137]
	v_fma_f64 v[2:3], v[46:47], s[14:15], v[134:135]
	buffer_store_dword v64, off, s[40:43], 0 ; 4-byte Folded Spill
	buffer_store_dword v65, off, s[40:43], 0 offset:4 ; 4-byte Folded Spill
	buffer_store_dword v66, off, s[40:43], 0 offset:8 ; 4-byte Folded Spill
	;; [unrolled: 1-line block ×3, first 2 shown]
	v_add_f64 v[0:1], v[60:61], v[0:1]
	v_fma_f64 v[64:65], v[52:53], s[14:15], -v[138:139]
	v_mul_f64 v[66:67], v[172:173], s[34:35]
	v_add_f64 v[0:1], v[2:3], v[0:1]
	v_fma_f64 v[2:3], v[42:43], s[16:17], -v[140:141]
	v_add_f64 v[2:3], v[62:63], v[2:3]
	v_add_f64 v[2:3], v[64:65], v[2:3]
	v_fma_f64 v[64:65], v[54:55], s[6:7], v[130:131]
	v_add_f64 v[0:1], v[64:65], v[0:1]
	v_fma_f64 v[64:65], v[58:59], s[6:7], -v[132:133]
	v_add_f64 v[2:3], v[64:65], v[2:3]
	v_fma_f64 v[64:65], v[48:49], s[12:13], v[66:67]
	v_add_f64 v[0:1], v[64:65], v[0:1]
	v_fma_f64 v[64:65], v[56:57], s[12:13], -v[70:71]
	v_add_f64 v[2:3], v[64:65], v[2:3]
	v_mul_f64 v[64:65], v[176:177], s[28:29]
	v_fma_f64 v[68:69], v[44:45], s[0:1], v[64:65]
	v_add_f64 v[112:113], v[68:69], v[0:1]
	v_mul_f64 v[68:69], v[178:179], s[28:29]
	v_fma_f64 v[0:1], v[50:51], s[0:1], -v[68:69]
	v_add_f64 v[114:115], v[0:1], v[2:3]
	buffer_store_dword v112, off, s[40:43], 0 offset:16 ; 4-byte Folded Spill
	buffer_store_dword v113, off, s[40:43], 0 offset:20 ; 4-byte Folded Spill
	;; [unrolled: 1-line block ×4, first 2 shown]
	v_mul_f64 v[112:113], v[160:161], s[18:19]
	v_mul_f64 v[114:115], v[164:165], s[36:37]
	v_fma_f64 v[0:1], v[36:37], s[12:13], -v[112:113]
	v_fma_f64 v[2:3], v[46:47], s[6:7], -v[114:115]
	v_fma_f64 v[112:113], v[36:37], s[12:13], v[112:113]
	v_fma_f64 v[114:115], v[46:47], s[6:7], v[114:115]
	v_add_f64 v[0:1], v[60:61], v[0:1]
	v_add_f64 v[112:113], v[60:61], v[112:113]
	;; [unrolled: 1-line block ×3, first 2 shown]
	v_fma_f64 v[2:3], v[42:43], s[12:13], v[180:181]
	v_add_f64 v[112:113], v[114:115], v[112:113]
	v_fma_f64 v[114:115], v[42:43], s[12:13], -v[180:181]
	v_fma_f64 v[180:181], v[52:53], s[6:7], -v[182:183]
	v_add_f64 v[2:3], v[62:63], v[2:3]
	v_add_f64 v[114:115], v[62:63], v[114:115]
	;; [unrolled: 1-line block ×3, first 2 shown]
	v_mul_f64 v[184:185], v[168:169], s[30:31]
	v_add_f64 v[114:115], v[180:181], v[114:115]
	v_fma_f64 v[186:187], v[54:55], s[16:17], -v[184:185]
	v_fma_f64 v[180:181], v[54:55], s[16:17], v[184:185]
	v_mul_f64 v[184:185], v[162:163], s[20:21]
	v_mul_f64 v[162:163], v[162:163], s[22:23]
	v_add_f64 v[0:1], v[186:187], v[0:1]
	v_mul_f64 v[186:187], v[170:171], s[30:31]
	v_add_f64 v[112:113], v[180:181], v[112:113]
	v_fma_f64 v[188:189], v[58:59], s[16:17], v[186:187]
	v_fma_f64 v[180:181], v[58:59], s[16:17], -v[186:187]
	v_mul_f64 v[186:187], v[166:167], s[34:35]
	v_mul_f64 v[166:167], v[166:167], s[28:29]
	v_add_f64 v[2:3], v[188:189], v[2:3]
	v_mul_f64 v[188:189], v[172:173], s[24:25]
	v_add_f64 v[114:115], v[180:181], v[114:115]
	v_fma_f64 v[190:191], v[48:49], s[0:1], -v[188:189]
	v_fma_f64 v[180:181], v[48:49], s[0:1], v[188:189]
	v_fma_f64 v[188:189], v[52:53], s[12:13], v[186:187]
	v_add_f64 v[0:1], v[190:191], v[0:1]
	v_mul_f64 v[190:191], v[174:175], s[24:25]
	v_add_f64 v[112:113], v[180:181], v[112:113]
	v_fma_f64 v[192:193], v[56:57], s[0:1], v[190:191]
	v_fma_f64 v[180:181], v[56:57], s[0:1], -v[190:191]
	v_add_f64 v[2:3], v[192:193], v[2:3]
	v_mul_f64 v[192:193], v[176:177], s[20:21]
	v_add_f64 v[114:115], v[180:181], v[114:115]
	v_fma_f64 v[194:195], v[44:45], s[14:15], -v[192:193]
	v_fma_f64 v[180:181], v[44:45], s[14:15], v[192:193]
	v_add_f64 v[0:1], v[194:195], v[0:1]
	v_mul_f64 v[194:195], v[178:179], s[20:21]
	v_add_f64 v[112:113], v[180:181], v[112:113]
	v_mul_f64 v[180:181], v[160:161], s[20:21]
	v_mul_f64 v[160:161], v[160:161], s[22:23]
	v_fma_f64 v[182:183], v[50:51], s[14:15], -v[194:195]
	v_fma_f64 v[196:197], v[50:51], s[14:15], v[194:195]
	v_add_f64 v[114:115], v[182:183], v[114:115]
	buffer_store_dword v112, off, s[40:43], 0 offset:32 ; 4-byte Folded Spill
	buffer_store_dword v113, off, s[40:43], 0 offset:36 ; 4-byte Folded Spill
	;; [unrolled: 1-line block ×4, first 2 shown]
	v_fma_f64 v[112:113], v[36:37], s[14:15], -v[180:181]
	v_mul_f64 v[182:183], v[164:165], s[34:35]
	v_fma_f64 v[180:181], v[36:37], s[14:15], v[180:181]
	v_add_f64 v[2:3], v[196:197], v[2:3]
	v_mul_f64 v[164:165], v[164:165], s[28:29]
	v_add_f64 v[112:113], v[60:61], v[112:113]
	v_fma_f64 v[114:115], v[46:47], s[12:13], -v[182:183]
	v_add_f64 v[180:181], v[60:61], v[180:181]
	v_fma_f64 v[182:183], v[46:47], s[12:13], v[182:183]
	v_add_f64 v[112:113], v[114:115], v[112:113]
	v_fma_f64 v[114:115], v[42:43], s[14:15], v[184:185]
	v_add_f64 v[180:181], v[182:183], v[180:181]
	v_fma_f64 v[182:183], v[42:43], s[14:15], -v[184:185]
	v_fma_f64 v[184:185], v[52:53], s[12:13], -v[186:187]
	v_add_f64 v[114:115], v[62:63], v[114:115]
	v_add_f64 v[182:183], v[62:63], v[182:183]
	;; [unrolled: 1-line block ×3, first 2 shown]
	v_mul_f64 v[188:189], v[168:169], s[24:25]
	v_add_f64 v[182:183], v[184:185], v[182:183]
	v_mul_f64 v[168:169], v[168:169], s[20:21]
	v_fma_f64 v[190:191], v[54:55], s[0:1], -v[188:189]
	v_fma_f64 v[184:185], v[54:55], s[0:1], v[188:189]
	v_add_f64 v[112:113], v[190:191], v[112:113]
	v_mul_f64 v[190:191], v[170:171], s[24:25]
	v_add_f64 v[180:181], v[184:185], v[180:181]
	v_mul_f64 v[170:171], v[170:171], s[20:21]
	v_fma_f64 v[192:193], v[58:59], s[0:1], v[190:191]
	v_fma_f64 v[184:185], v[58:59], s[0:1], -v[190:191]
	v_add_f64 v[114:115], v[192:193], v[114:115]
	v_mul_f64 v[192:193], v[172:173], s[22:23]
	v_add_f64 v[182:183], v[184:185], v[182:183]
	v_mul_f64 v[172:173], v[172:173], s[30:31]
	v_fma_f64 v[194:195], v[48:49], s[6:7], -v[192:193]
	v_fma_f64 v[184:185], v[48:49], s[6:7], v[192:193]
	v_add_f64 v[112:113], v[194:195], v[112:113]
	v_mul_f64 v[194:195], v[174:175], s[22:23]
	v_add_f64 v[180:181], v[184:185], v[180:181]
	v_mul_f64 v[174:175], v[174:175], s[30:31]
	v_fma_f64 v[196:197], v[56:57], s[6:7], v[194:195]
	v_fma_f64 v[184:185], v[56:57], s[6:7], -v[194:195]
	v_add_f64 v[114:115], v[196:197], v[114:115]
	v_mul_f64 v[196:197], v[176:177], s[30:31]
	v_add_f64 v[182:183], v[184:185], v[182:183]
	v_mul_f64 v[176:177], v[176:177], s[18:19]
	v_fma_f64 v[198:199], v[44:45], s[16:17], -v[196:197]
	v_fma_f64 v[184:185], v[44:45], s[16:17], v[196:197]
	v_add_f64 v[112:113], v[198:199], v[112:113]
	v_mul_f64 v[198:199], v[178:179], s[30:31]
	v_add_f64 v[180:181], v[184:185], v[180:181]
	v_fma_f64 v[184:185], v[52:53], s[0:1], v[166:167]
	v_mul_f64 v[178:179], v[178:179], s[18:19]
	v_fma_f64 v[186:187], v[50:51], s[16:17], -v[198:199]
	v_fma_f64 v[200:201], v[50:51], s[16:17], v[198:199]
	v_add_f64 v[182:183], v[186:187], v[182:183]
	buffer_store_dword v180, off, s[40:43], 0 offset:48 ; 4-byte Folded Spill
	buffer_store_dword v181, off, s[40:43], 0 offset:52 ; 4-byte Folded Spill
	;; [unrolled: 1-line block ×4, first 2 shown]
	v_fma_f64 v[180:181], v[36:37], s[6:7], -v[160:161]
	v_fma_f64 v[182:183], v[46:47], s[0:1], -v[164:165]
	v_fma_f64 v[160:161], v[36:37], s[6:7], v[160:161]
	v_fma_f64 v[164:165], v[46:47], s[0:1], v[164:165]
	v_add_f64 v[114:115], v[200:201], v[114:115]
	v_add_f64 v[180:181], v[60:61], v[180:181]
	;; [unrolled: 1-line block ×4, first 2 shown]
	v_fma_f64 v[182:183], v[42:43], s[6:7], v[162:163]
	v_fma_f64 v[162:163], v[42:43], s[6:7], -v[162:163]
	v_add_f64 v[160:161], v[164:165], v[160:161]
	v_fma_f64 v[164:165], v[52:53], s[0:1], -v[166:167]
	v_fma_f64 v[166:167], v[50:51], s[12:13], -v[178:179]
	v_add_f64 v[182:183], v[62:63], v[182:183]
	v_add_f64 v[162:163], v[62:63], v[162:163]
	;; [unrolled: 1-line block ×3, first 2 shown]
	v_fma_f64 v[184:185], v[54:55], s[14:15], -v[168:169]
	v_add_f64 v[162:163], v[164:165], v[162:163]
	v_fma_f64 v[164:165], v[54:55], s[14:15], v[168:169]
	v_add_co_u32 v168, s18, 0x6e, v202
	v_add_f64 v[180:181], v[184:185], v[180:181]
	v_fma_f64 v[184:185], v[58:59], s[14:15], v[170:171]
	v_add_f64 v[160:161], v[164:165], v[160:161]
	v_fma_f64 v[164:165], v[58:59], s[14:15], -v[170:171]
	v_add_f64 v[182:183], v[184:185], v[182:183]
	v_fma_f64 v[184:185], v[48:49], s[16:17], -v[172:173]
	v_add_f64 v[162:163], v[164:165], v[162:163]
	v_fma_f64 v[164:165], v[48:49], s[16:17], v[172:173]
	v_add_f64 v[180:181], v[184:185], v[180:181]
	v_fma_f64 v[184:185], v[56:57], s[16:17], v[174:175]
	v_add_f64 v[160:161], v[164:165], v[160:161]
	v_fma_f64 v[164:165], v[56:57], s[16:17], -v[174:175]
	v_add_f64 v[182:183], v[184:185], v[182:183]
	v_fma_f64 v[184:185], v[44:45], s[12:13], -v[176:177]
	v_add_f64 v[162:163], v[164:165], v[162:163]
	v_fma_f64 v[164:165], v[44:45], s[12:13], v[176:177]
	v_add_f64 v[184:185], v[184:185], v[180:181]
	v_fma_f64 v[180:181], v[50:51], s[12:13], v[178:179]
	v_add_f64 v[160:161], v[164:165], v[160:161]
	v_add_f64 v[162:163], v[166:167], v[162:163]
	;; [unrolled: 1-line block ×3, first 2 shown]
	buffer_store_dword v184, off, s[40:43], 0 offset:64 ; 4-byte Folded Spill
	buffer_store_dword v185, off, s[40:43], 0 offset:68 ; 4-byte Folded Spill
	;; [unrolled: 1-line block ×8, first 2 shown]
	v_mov_b32_e32 v160, 4
	s_waitcnt lgkmcnt(0)
	s_waitcnt_vscnt null, 0x0
	s_barrier
	buffer_gl0_inv
	v_lshlrev_b32_sdwa v143, v160, v143 dst_sel:DWORD dst_unused:UNUSED_PAD src0_sel:DWORD src1_sel:WORD_0
	ds_write_b128 v143, v[4:7]
	ds_write_b128 v143, v[12:15] offset:16
	ds_write_b128 v143, v[116:119] offset:32
	;; [unrolled: 1-line block ×10, first 2 shown]
	v_add_co_ci_u32_e64 v4, null, 0, 0, s18
	v_mul_u32_u24_e32 v4, 11, v168
	buffer_store_dword v4, off, s[40:43], 0 offset:676 ; 4-byte Folded Spill
	s_and_saveexec_b32 s18, vcc_lo
	s_cbranch_execz .LBB0_7
; %bb.6:
	v_add_f64 v[4:5], v[62:63], v[74:75]
	v_add_f64 v[6:7], v[60:61], v[72:73]
	v_mul_f64 v[8:9], v[42:43], s[16:17]
	v_mul_f64 v[14:15], v[36:37], s[0:1]
	;; [unrolled: 1-line block ×10, first 2 shown]
	v_add_f64 v[4:5], v[4:5], v[78:79]
	v_add_f64 v[6:7], v[6:7], v[76:77]
	;; [unrolled: 1-line block ×3, first 2 shown]
	v_add_f64 v[14:15], v[14:15], -v[24:25]
	v_add_f64 v[10:11], v[10:11], -v[136:137]
	v_add_f64 v[12:13], v[26:27], v[12:13]
	v_mul_f64 v[24:25], v[54:55], s[12:13]
	v_add_f64 v[16:17], v[138:139], v[16:17]
	v_add_f64 v[28:29], v[42:43], -v[28:29]
	v_mul_f64 v[26:27], v[58:59], s[12:13]
	v_add_f64 v[18:19], v[18:19], -v[134:135]
	v_add_f64 v[36:37], v[38:39], v[36:37]
	v_mul_f64 v[38:39], v[48:49], s[14:15]
	v_mul_f64 v[54:55], v[56:57], s[12:13]
	v_add_f64 v[52:53], v[132:133], v[52:53]
	v_mul_f64 v[42:43], v[56:57], s[14:15]
	v_mul_f64 v[48:49], v[48:49], s[12:13]
	v_add_f64 v[46:47], v[46:47], -v[130:131]
	v_add_f64 v[4:5], v[4:5], v[82:83]
	v_add_f64 v[6:7], v[6:7], v[80:81]
	;; [unrolled: 1-line block ×6, first 2 shown]
	v_add_f64 v[24:25], v[24:25], -v[30:31]
	v_mul_f64 v[30:31], v[50:51], s[0:1]
	v_add_f64 v[26:27], v[40:41], v[26:27]
	v_add_f64 v[20:21], v[38:39], -v[20:21]
	v_add_f64 v[32:33], v[32:33], v[42:43]
	v_add_f64 v[40:41], v[48:49], -v[66:67]
	v_add_f64 v[4:5], v[4:5], v[86:87]
	v_add_f64 v[6:7], v[6:7], v[84:85]
	;; [unrolled: 1-line block ×6, first 2 shown]
	v_mul_f64 v[16:17], v[44:45], s[6:7]
	v_add_f64 v[36:37], v[70:71], v[54:55]
	v_mul_f64 v[18:19], v[50:51], s[6:7]
	v_mul_f64 v[28:29], v[44:45], s[0:1]
	v_add_f64 v[4:5], v[4:5], v[102:103]
	v_add_f64 v[6:7], v[6:7], v[100:101]
	;; [unrolled: 1-line block ×7, first 2 shown]
	v_add_f64 v[16:17], v[16:17], -v[22:23]
	v_add_f64 v[18:19], v[34:35], v[18:19]
	v_add_f64 v[26:27], v[28:29], -v[64:65]
	v_add_f64 v[4:5], v[4:5], v[98:99]
	v_add_f64 v[6:7], v[6:7], v[96:97]
	v_add_f64 v[8:9], v[36:37], v[8:9]
	v_add_f64 v[14:15], v[20:21], v[14:15]
	v_add_f64 v[10:11], v[40:41], v[10:11]
	v_add_f64 v[12:13], v[32:33], v[12:13]
	v_add_f64 v[4:5], v[4:5], v[94:95]
	v_add_f64 v[6:7], v[6:7], v[92:93]
	v_add_f64 v[4:5], v[4:5], v[90:91]
	v_add_f64 v[6:7], v[6:7], v[88:89]
	v_add_f64 v[20:21], v[4:5], v[106:107]
	v_add_f64 v[22:23], v[6:7], v[104:105]
	v_add_f64 v[6:7], v[24:25], v[8:9]
	v_add_f64 v[8:9], v[16:17], v[14:15]
	v_mul_u32_u24_e32 v16, 11, v168
	v_add_f64 v[4:5], v[26:27], v[10:11]
	v_add_f64 v[10:11], v[18:19], v[12:13]
	v_lshlrev_b32_e32 v16, 4, v16
	ds_write_b128 v16, v[0:3] offset:48
	ds_write_b128 v16, v[112:115] offset:64
	v_add_f64 v[14:15], v[20:21], v[110:111]
	s_clause 0x3
	buffer_load_dword v17, off, s[40:43], 0 offset:64
	buffer_load_dword v18, off, s[40:43], 0 offset:68
	;; [unrolled: 1-line block ×4, first 2 shown]
	v_add_f64 v[12:13], v[22:23], v[108:109]
	s_waitcnt vmcnt(0)
	ds_write_b128 v16, v[17:20] offset:80
	s_clause 0x3
	buffer_load_dword v17, off, s[40:43], 0 offset:80
	buffer_load_dword v18, off, s[40:43], 0 offset:84
	buffer_load_dword v19, off, s[40:43], 0 offset:88
	buffer_load_dword v20, off, s[40:43], 0 offset:92
	s_waitcnt vmcnt(0)
	ds_write_b128 v16, v[17:20] offset:96
	s_clause 0x3
	buffer_load_dword v17, off, s[40:43], 0 offset:48
	buffer_load_dword v18, off, s[40:43], 0 offset:52
	buffer_load_dword v19, off, s[40:43], 0 offset:56
	buffer_load_dword v20, off, s[40:43], 0 offset:60
	;; [unrolled: 7-line block ×4, first 2 shown]
	s_waitcnt vmcnt(0)
	ds_write_b128 v16, v[17:20] offset:144
	ds_write_b128 v16, v[8:11] offset:16
	;; [unrolled: 1-line block ×3, first 2 shown]
	ds_write_b128 v16, v[12:15]
	s_clause 0x3
	buffer_load_dword v4, off, s[40:43], 0
	buffer_load_dword v5, off, s[40:43], 0 offset:4
	buffer_load_dword v6, off, s[40:43], 0 offset:8
	;; [unrolled: 1-line block ×3, first 2 shown]
	s_waitcnt vmcnt(0)
	ds_write_b128 v16, v[4:7] offset:160
.LBB0_7:
	s_or_b32 exec_lo, exec_lo, s18
	s_waitcnt lgkmcnt(0)
	s_waitcnt_vscnt null, 0x0
	s_barrier
	buffer_gl0_inv
	ds_read_b128 v[4:7], v142
	ds_read_b128 v[8:11], v142 offset:1760
	ds_read_b128 v[32:35], v142 offset:14960
	;; [unrolled: 1-line block ×13, first 2 shown]
	v_cmp_gt_u16_e64 s0, 55, v202
	s_and_saveexec_b32 s1, s0
	s_cbranch_execz .LBB0_9
; %bb.8:
	ds_read_b128 v[0:3], v142 offset:12320
	ds_read_b128 v[112:115], v142 offset:25520
.LBB0_9:
	s_or_b32 exec_lo, exec_lo, s1
	v_and_b32_e32 v44, 0xff, v202
	v_and_b32_e32 v45, 0xff, v168
	v_add_co_u32 v130, s1, 0xdc, v202
	v_add_co_u32 v47, null, 0x14a, v202
	v_mul_lo_u16 v44, 0x75, v44
	v_mul_lo_u16 v46, 0x75, v45
	v_mov_b32_e32 v55, 0xba2f
	v_add_co_u32 v53, null, 0x226, v202
	v_lshrrev_b16 v51, 8, v44
	v_lshrrev_b16 v52, 8, v46
	v_add_co_u32 v46, null, 0x1b8, v202
	v_add_co_u32 v54, null, 0x294, v202
	v_sub_nc_u16 v44, v202, v51
	v_sub_nc_u16 v48, v168, v52
	v_mul_u32_u24_sdwa v50, v130, v55 dst_sel:DWORD dst_unused:UNUSED_PAD src0_sel:WORD_0 src1_sel:DWORD
	v_add_nc_u16 v56, v202, 0x302
	v_mov_b32_e32 v99, 22
	v_lshrrev_b16 v49, 1, v44
	v_lshrrev_b16 v48, 1, v48
	v_lshrrev_b32_e32 v83, 19, v50
	v_mov_b32_e32 v44, 4
	v_add_co_ci_u32_e64 v131, null, 0, 0, s1
	v_and_b32_e32 v57, 0x7f, v49
	v_and_b32_e32 v58, 0x7f, v48
	v_mul_u32_u24_sdwa v49, v47, v55 dst_sel:DWORD dst_unused:UNUSED_PAD src0_sel:WORD_0 src1_sel:DWORD
	v_mul_u32_u24_sdwa v48, v46, v55 dst_sel:DWORD dst_unused:UNUSED_PAD src0_sel:WORD_0 src1_sel:DWORD
	v_add_nc_u16 v51, v57, v51
	v_add_nc_u16 v52, v58, v52
	v_mul_u32_u24_sdwa v57, v53, v55 dst_sel:DWORD dst_unused:UNUSED_PAD src0_sel:WORD_0 src1_sel:DWORD
	v_mul_u32_u24_sdwa v58, v54, v55 dst_sel:DWORD dst_unused:UNUSED_PAD src0_sel:WORD_0 src1_sel:DWORD
	v_lshrrev_b32_e32 v85, 19, v49
	v_lshrrev_b16 v84, 3, v51
	v_lshrrev_b16 v86, 3, v52
	v_lshrrev_b32_e32 v87, 19, v48
	v_lshrrev_b32_e32 v88, 19, v57
	;; [unrolled: 1-line block ×3, first 2 shown]
	v_mul_lo_u16 v51, v84, 11
	v_mul_lo_u16 v52, v86, 11
	;; [unrolled: 1-line block ×5, first 2 shown]
	v_sub_nc_u16 v51, v202, v51
	v_sub_nc_u16 v52, v168, v52
	v_mul_lo_u16 v60, v88, 11
	v_sub_nc_u16 v91, v130, v57
	v_sub_nc_u16 v93, v47, v58
	v_and_b32_e32 v90, 0xff, v51
	v_and_b32_e32 v92, 0xff, v52
	v_sub_nc_u16 v94, v46, v59
	v_sub_nc_u16 v95, v53, v60
	v_lshlrev_b32_sdwa v53, v44, v91 dst_sel:DWORD dst_unused:UNUSED_PAD src0_sel:DWORD src1_sel:WORD_0
	v_lshlrev_b32_e32 v51, 4, v90
	v_lshlrev_b32_e32 v52, 4, v92
	v_mul_lo_u16 v61, v89, 11
	v_mad_u16 v83, v83, 22, v91
	s_clause 0x2
	global_load_dwordx4 v[144:147], v53, s[4:5]
	global_load_dwordx4 v[132:135], v51, s[4:5]
	;; [unrolled: 1-line block ×3, first 2 shown]
	v_lshlrev_b32_sdwa v51, v44, v93 dst_sel:DWORD dst_unused:UNUSED_PAD src0_sel:DWORD src1_sel:WORD_0
	v_lshlrev_b32_sdwa v52, v44, v94 dst_sel:DWORD dst_unused:UNUSED_PAD src0_sel:DWORD src1_sel:WORD_0
	v_sub_nc_u16 v96, v54, v61
	v_mad_u16 v85, v85, 22, v93
	v_mad_u16 v87, v87, 22, v94
	global_load_dwordx4 v[148:151], v51, s[4:5]
	v_lshlrev_b32_sdwa v53, v44, v95 dst_sel:DWORD dst_unused:UNUSED_PAD src0_sel:DWORD src1_sel:WORD_0
	s_clause 0x1
	global_load_dwordx4 v[152:155], v52, s[4:5]
	global_load_dwordx4 v[79:82], v53, s[4:5]
	v_mul_u32_u24_sdwa v52, v56, v55 dst_sel:DWORD dst_unused:UNUSED_PAD src0_sel:WORD_0 src1_sel:DWORD
	v_lshlrev_b32_sdwa v51, v44, v96 dst_sel:DWORD dst_unused:UNUSED_PAD src0_sel:DWORD src1_sel:WORD_0
	v_mad_u16 v88, v88, 22, v95
	v_mad_u16 v89, v89, 22, v96
	v_lshrrev_b32_e32 v97, 19, v52
	global_load_dwordx4 v[124:127], v51, s[4:5]
	v_mul_lo_u16 v51, v97, 11
	v_sub_nc_u16 v98, v56, v51
	v_lshlrev_b32_sdwa v51, v44, v98 dst_sel:DWORD dst_unused:UNUSED_PAD src0_sel:DWORD src1_sel:WORD_0
	global_load_dwordx4 v[120:123], v51, s[4:5]
	s_waitcnt vmcnt(7) lgkmcnt(10)
	v_mul_f64 v[59:60], v[38:39], v[146:147]
	s_waitcnt vmcnt(6) lgkmcnt(3)
	v_mul_f64 v[51:52], v[118:119], v[134:135]
	s_waitcnt vmcnt(5)
	v_mul_f64 v[55:56], v[34:35], v[138:139]
	v_mul_f64 v[53:54], v[116:117], v[134:135]
	;; [unrolled: 1-line block ×4, first 2 shown]
	s_waitcnt vmcnt(4)
	v_mul_f64 v[63:64], v[42:43], v[150:151]
	v_mul_f64 v[65:66], v[40:41], v[150:151]
	s_waitcnt vmcnt(3)
	v_mul_f64 v[67:68], v[102:103], v[154:155]
	s_waitcnt vmcnt(2) lgkmcnt(1)
	v_mul_f64 v[71:72], v[110:111], v[81:82]
	v_mul_f64 v[69:70], v[100:101], v[154:155]
	;; [unrolled: 1-line block ×3, first 2 shown]
	s_waitcnt vmcnt(1) lgkmcnt(0)
	v_mul_f64 v[75:76], v[106:107], v[126:127]
	v_mul_f64 v[77:78], v[104:105], v[126:127]
	v_fma_f64 v[59:60], v[36:37], v[144:145], -v[59:60]
	v_fma_f64 v[51:52], v[116:117], v[132:133], -v[51:52]
	buffer_store_dword v132, off, s[40:43], 0 offset:380 ; 4-byte Folded Spill
	buffer_store_dword v133, off, s[40:43], 0 offset:384 ; 4-byte Folded Spill
	;; [unrolled: 1-line block ×4, first 2 shown]
	v_fma_f64 v[55:56], v[32:33], v[136:137], -v[55:56]
	buffer_store_dword v136, off, s[40:43], 0 offset:396 ; 4-byte Folded Spill
	buffer_store_dword v137, off, s[40:43], 0 offset:400 ; 4-byte Folded Spill
	;; [unrolled: 1-line block ×8, first 2 shown]
	v_fma_f64 v[63:64], v[40:41], v[148:149], -v[63:64]
	buffer_store_dword v148, off, s[40:43], 0 offset:428 ; 4-byte Folded Spill
	buffer_store_dword v149, off, s[40:43], 0 offset:432 ; 4-byte Folded Spill
	buffer_store_dword v150, off, s[40:43], 0 offset:436 ; 4-byte Folded Spill
	buffer_store_dword v151, off, s[40:43], 0 offset:440 ; 4-byte Folded Spill
	v_fma_f64 v[67:68], v[100:101], v[152:153], -v[67:68]
	buffer_store_dword v152, off, s[40:43], 0 offset:444 ; 4-byte Folded Spill
	buffer_store_dword v153, off, s[40:43], 0 offset:448 ; 4-byte Folded Spill
	buffer_store_dword v154, off, s[40:43], 0 offset:452 ; 4-byte Folded Spill
	buffer_store_dword v155, off, s[40:43], 0 offset:456 ; 4-byte Folded Spill
	v_fma_f64 v[71:72], v[108:109], v[79:80], -v[71:72]
	buffer_store_dword v79, off, s[40:43], 0 offset:348 ; 4-byte Folded Spill
	buffer_store_dword v80, off, s[40:43], 0 offset:352 ; 4-byte Folded Spill
	buffer_store_dword v81, off, s[40:43], 0 offset:356 ; 4-byte Folded Spill
	buffer_store_dword v82, off, s[40:43], 0 offset:360 ; 4-byte Folded Spill
	s_waitcnt vmcnt(0)
	v_mul_f64 v[81:82], v[112:113], v[122:123]
	v_fma_f64 v[75:76], v[104:105], v[124:125], -v[75:76]
	buffer_store_dword v124, off, s[40:43], 0 offset:364 ; 4-byte Folded Spill
	buffer_store_dword v125, off, s[40:43], 0 offset:368 ; 4-byte Folded Spill
	buffer_store_dword v126, off, s[40:43], 0 offset:372 ; 4-byte Folded Spill
	buffer_store_dword v127, off, s[40:43], 0 offset:376 ; 4-byte Folded Spill
	v_add_f64 v[40:41], v[16:17], -v[59:60]
	v_add_f64 v[32:33], v[4:5], -v[51:52]
	;; [unrolled: 1-line block ×6, first 2 shown]
	v_mad_u16 v71, v97, 22, v98
	v_mul_u32_u24_sdwa v72, v86, v99 dst_sel:DWORD dst_unused:UNUSED_PAD src0_sel:WORD_0 src1_sel:DWORD
	v_add_f64 v[63:64], v[28:29], -v[75:76]
	v_lshlrev_b32_sdwa v75, v44, v83 dst_sel:DWORD dst_unused:UNUSED_PAD src0_sel:DWORD src1_sel:WORD_0
	v_fma_f64 v[16:17], v[16:17], 2.0, -v[40:41]
	v_fma_f64 v[4:5], v[4:5], 2.0, -v[32:33]
	;; [unrolled: 1-line block ×7, first 2 shown]
	v_fma_f64 v[53:54], v[118:119], v[132:133], v[53:54]
	v_fma_f64 v[57:58], v[34:35], v[136:137], v[57:58]
	;; [unrolled: 1-line block ×6, first 2 shown]
	v_mul_f64 v[79:80], v[114:115], v[122:123]
	v_fma_f64 v[77:78], v[106:107], v[124:125], v[77:78]
	v_add_f64 v[34:35], v[6:7], -v[53:54]
	v_add_f64 v[38:39], v[10:11], -v[57:58]
	;; [unrolled: 1-line block ×6, first 2 shown]
	v_fma_f64 v[67:68], v[112:113], v[120:121], -v[79:80]
	buffer_store_dword v120, off, s[40:43], 0 offset:680 ; 4-byte Folded Spill
	buffer_store_dword v121, off, s[40:43], 0 offset:684 ; 4-byte Folded Spill
	;; [unrolled: 1-line block ×5, first 2 shown]
	v_mul_u32_u24_sdwa v71, v84, v99 dst_sel:DWORD dst_unused:UNUSED_PAD src0_sel:WORD_0 src1_sel:DWORD
	v_lshlrev_b32_sdwa v74, v44, v85 dst_sel:DWORD dst_unused:UNUSED_PAD src0_sel:DWORD src1_sel:WORD_0
	v_add_f64 v[65:66], v[30:31], -v[77:78]
	v_lshlrev_b32_sdwa v73, v44, v87 dst_sel:DWORD dst_unused:UNUSED_PAD src0_sel:DWORD src1_sel:WORD_0
	s_waitcnt_vscnt null, 0x0
	v_fma_f64 v[6:7], v[6:7], 2.0, -v[34:35]
	s_barrier
	v_fma_f64 v[10:11], v[10:11], 2.0, -v[38:39]
	v_fma_f64 v[18:19], v[18:19], 2.0, -v[42:43]
	buffer_gl0_inv
	v_fma_f64 v[14:15], v[14:15], 2.0, -v[53:54]
	v_fma_f64 v[26:27], v[26:27], 2.0, -v[57:58]
	;; [unrolled: 1-line block ×3, first 2 shown]
	v_add_f64 v[164:165], v[0:1], -v[67:68]
	v_lshlrev_b32_sdwa v68, v44, v88 dst_sel:DWORD dst_unused:UNUSED_PAD src0_sel:DWORD src1_sel:WORD_0
	v_lshlrev_b32_sdwa v67, v44, v89 dst_sel:DWORD dst_unused:UNUSED_PAD src0_sel:DWORD src1_sel:WORD_0
	v_fma_f64 v[30:31], v[30:31], 2.0, -v[65:66]
	v_fma_f64 v[69:70], v[114:115], v[120:121], v[81:82]
	v_add_f64 v[166:167], v[2:3], -v[69:70]
	v_add_lshl_u32 v70, v71, v90, 4
	v_add_lshl_u32 v69, v72, v92, 4
	ds_write_b128 v70, v[32:35] offset:176
	buffer_store_dword v70, off, s[40:43], 0 offset:504 ; 4-byte Folded Spill
	ds_write_b128 v70, v[4:7]
	ds_write_b128 v69, v[8:11]
	buffer_store_dword v69, off, s[40:43], 0 offset:500 ; 4-byte Folded Spill
	ds_write_b128 v69, v[36:39] offset:176
	ds_write_b128 v75, v[16:19]
	buffer_store_dword v75, off, s[40:43], 0 offset:496 ; 4-byte Folded Spill
	ds_write_b128 v75, v[40:43] offset:176
	;; [unrolled: 3-line block ×6, first 2 shown]
	s_and_saveexec_b32 s1, s0
	s_cbranch_execz .LBB0_11
; %bb.10:
	buffer_load_dword v4, off, s[40:43], 0 offset:460 ; 4-byte Folded Reload
	v_fma_f64 v[2:3], v[2:3], 2.0, -v[166:167]
	v_fma_f64 v[0:1], v[0:1], 2.0, -v[164:165]
	s_waitcnt vmcnt(0)
	v_lshlrev_b32_sdwa v4, v44, v4 dst_sel:DWORD dst_unused:UNUSED_PAD src0_sel:DWORD src1_sel:WORD_0
	ds_write_b128 v4, v[0:3]
	ds_write_b128 v4, v[164:167] offset:176
.LBB0_11:
	s_or_b32 exec_lo, exec_lo, s1
	v_lshrrev_b32_e32 v3, 20, v50
	v_lshrrev_b32_e32 v4, 20, v49
	;; [unrolled: 1-line block ×3, first 2 shown]
	v_lshrrev_b16 v1, 1, v45
	v_lshrrev_b16 v7, 1, v202
	v_mul_lo_u16 v0, v3, 22
	s_waitcnt lgkmcnt(0)
	s_waitcnt_vscnt null, 0x0
	v_mul_lo_u16 v8, v6, 22
	v_mul_lo_u16 v9, 0xbb, v1
	s_barrier
	v_sub_nc_u16 v5, v130, v0
	v_mul_lo_u16 v0, v4, 22
	buffer_gl0_inv
	v_sub_nc_u16 v98, v46, v8
	v_lshrrev_b16 v99, 11, v9
	v_lshlrev_b16 v2, 5, v5
	v_sub_nc_u16 v43, v47, v0
	v_mad_u16 v3, 0x42, v3, v5
	v_lshlrev_b16 v9, 5, v98
	s_mov_b32 s6, 0xe8584caa
	v_and_b32_e32 v0, 0xffff, v2
	v_and_b32_e32 v2, 0x7f, v7
	v_lshlrev_b16 v7, 5, v43
	v_mad_u16 v43, 0x42, v4, v43
	v_mov_b32_e32 v4, 0x42
	v_add_co_u32 v0, s1, s4, v0
	v_add_co_ci_u32_e64 v1, null, s5, 0, s1
	v_and_b32_e32 v7, 0xffff, v7
	v_mul_lo_u16 v2, 0xbb, v2
	s_mov_b32 s7, 0x3febb67a
	s_clause 0x1
	global_load_dwordx4 v[103:106], v[0:1], off offset:176
	global_load_dwordx4 v[78:81], v[0:1], off offset:192
	v_mul_lo_u16 v0, v99, 22
	v_and_b32_e32 v1, 0xffff, v9
	v_add_co_u32 v7, s1, s4, v7
	v_add_co_ci_u32_e64 v8, null, s5, 0, s1
	v_lshrrev_b16 v100, 11, v2
	v_sub_nc_u16 v2, v168, v0
	v_add_co_u32 v0, s1, s4, v1
	v_add_co_ci_u32_e64 v1, null, s5, 0, s1
	s_clause 0x1
	global_load_dwordx4 v[86:89], v[7:8], off offset:176
	global_load_dwordx4 v[82:85], v[7:8], off offset:192
	v_and_b32_e32 v101, 0xff, v2
	s_clause 0x1
	global_load_dwordx4 v[60:63], v[0:1], off offset:192
	global_load_dwordx4 v[94:97], v[0:1], off offset:176
	v_mul_lo_u16 v7, v100, 22
	s_mov_b32 s13, 0xbfebb67a
	s_mov_b32 s12, s6
	;; [unrolled: 1-line block ×4, first 2 shown]
	v_sub_nc_u16 v2, v202, v7
	v_lshlrev_b32_e32 v7, 5, v101
	s_mov_b32 s17, 0xbfee6f0e
	s_mov_b32 s16, s14
	;; [unrolled: 1-line block ×3, first 2 shown]
	v_and_b32_e32 v102, 0xff, v2
	global_load_dwordx4 v[90:93], v7, s[4:5] offset:176
	s_mov_b32 s19, 0x3fd3c6ef
	v_lshlrev_b32_e32 v0, 5, v102
	s_clause 0x2
	global_load_dwordx4 v[107:110], v7, s[4:5] offset:192
	global_load_dwordx4 v[148:151], v0, s[4:5] offset:176
	;; [unrolled: 1-line block ×3, first 2 shown]
	ds_read_b128 v[7:10], v142 offset:12320
	ds_read_b128 v[11:14], v142 offset:21120
	;; [unrolled: 1-line block ×11, first 2 shown]
	s_waitcnt vmcnt(9) lgkmcnt(10)
	v_mul_f64 v[0:1], v[9:10], v[105:106]
	s_waitcnt vmcnt(8) lgkmcnt(9)
	v_mul_f64 v[56:57], v[13:14], v[80:81]
	v_mul_f64 v[54:55], v[7:8], v[105:106]
	;; [unrolled: 1-line block ×3, first 2 shown]
	s_waitcnt vmcnt(7) lgkmcnt(8)
	v_mul_f64 v[64:65], v[17:18], v[88:89]
	s_waitcnt vmcnt(6) lgkmcnt(7)
	v_mul_f64 v[68:69], v[21:22], v[84:85]
	v_mul_f64 v[66:67], v[15:16], v[88:89]
	;; [unrolled: 1-line block ×3, first 2 shown]
	s_waitcnt vmcnt(4) lgkmcnt(6)
	v_mul_f64 v[72:73], v[25:26], v[96:97]
	v_mul_f64 v[74:75], v[23:24], v[96:97]
	v_fma_f64 v[76:77], v[7:8], v[103:104], -v[0:1]
	s_waitcnt lgkmcnt(4)
	v_mul_f64 v[0:1], v[33:34], v[62:63]
	buffer_store_dword v103, off, s[40:43], 0 offset:620 ; 4-byte Folded Spill
	buffer_store_dword v104, off, s[40:43], 0 offset:624 ; 4-byte Folded Spill
	;; [unrolled: 1-line block ×4, first 2 shown]
	v_mul_f64 v[7:8], v[31:32], v[62:63]
	v_fma_f64 v[56:57], v[11:12], v[78:79], -v[56:57]
	buffer_store_dword v78, off, s[40:43], 0 offset:604 ; 4-byte Folded Spill
	buffer_store_dword v79, off, s[40:43], 0 offset:608 ; 4-byte Folded Spill
	;; [unrolled: 1-line block ×4, first 2 shown]
	s_waitcnt vmcnt(3)
	v_mul_f64 v[80:81], v[27:28], v[92:93]
	v_fma_f64 v[15:16], v[15:16], v[86:87], -v[64:65]
	buffer_store_dword v86, off, s[40:43], 0 offset:572 ; 4-byte Folded Spill
	buffer_store_dword v87, off, s[40:43], 0 offset:576 ; 4-byte Folded Spill
	buffer_store_dword v88, off, s[40:43], 0 offset:580 ; 4-byte Folded Spill
	buffer_store_dword v89, off, s[40:43], 0 offset:584 ; 4-byte Folded Spill
	v_fma_f64 v[19:20], v[19:20], v[82:83], -v[68:69]
	buffer_store_dword v82, off, s[40:43], 0 offset:556 ; 4-byte Folded Spill
	buffer_store_dword v83, off, s[40:43], 0 offset:560 ; 4-byte Folded Spill
	buffer_store_dword v84, off, s[40:43], 0 offset:564 ; 4-byte Folded Spill
	buffer_store_dword v85, off, s[40:43], 0 offset:568 ; 4-byte Folded Spill
	;; [unrolled: 5-line block ×3, first 2 shown]
	s_waitcnt vmcnt(2) lgkmcnt(3)
	v_mul_f64 v[64:65], v[37:38], v[109:110]
	s_waitcnt vmcnt(0) lgkmcnt(1)
	v_mul_f64 v[72:73], v[46:47], v[146:147]
	v_mul_f64 v[68:69], v[41:42], v[150:151]
	v_fma_f64 v[31:32], v[31:32], v[60:61], -v[0:1]
	buffer_store_dword v60, off, s[40:43], 0 offset:540 ; 4-byte Folded Spill
	buffer_store_dword v61, off, s[40:43], 0 offset:544 ; 4-byte Folded Spill
	buffer_store_dword v62, off, s[40:43], 0 offset:548 ; 4-byte Folded Spill
	buffer_store_dword v63, off, s[40:43], 0 offset:552 ; 4-byte Folded Spill
	v_mul_f64 v[0:1], v[48:49], v[146:147]
	v_fma_f64 v[48:49], v[48:49], v[144:145], v[72:73]
	v_fma_f64 v[46:47], v[46:47], v[144:145], -v[0:1]
	v_add_f64 v[0:1], v[23:24], v[31:32]
	v_fma_f64 v[54:55], v[9:10], v[103:104], v[54:55]
	v_fma_f64 v[58:59], v[13:14], v[78:79], v[58:59]
	v_mul_f64 v[78:79], v[29:30], v[92:93]
	v_fma_f64 v[29:30], v[29:30], v[90:91], v[80:81]
	v_fma_f64 v[17:18], v[17:18], v[86:87], v[66:67]
	v_mul_f64 v[66:67], v[35:36], v[109:110]
	v_fma_f64 v[35:36], v[35:36], v[107:108], -v[64:65]
	v_add_f64 v[64:65], v[76:77], v[56:57]
	v_fma_f64 v[25:26], v[25:26], v[94:95], v[74:75]
	v_fma_f64 v[21:22], v[21:22], v[82:83], v[70:71]
	v_mul_f64 v[70:71], v[39:40], v[150:151]
	s_waitcnt lgkmcnt(0)
	v_fma_f64 v[82:83], v[0:1], -0.5, v[50:51]
	v_fma_f64 v[39:40], v[39:40], v[148:149], -v[68:69]
	v_fma_f64 v[33:34], v[33:34], v[60:61], v[7:8]
	ds_read_b128 v[7:10], v142 offset:3520
	ds_read_b128 v[11:14], v142 offset:5280
	buffer_store_dword v107, off, s[40:43], 0 offset:636 ; 4-byte Folded Spill
	buffer_store_dword v108, off, s[40:43], 0 offset:640 ; 4-byte Folded Spill
	;; [unrolled: 1-line block ×4, first 2 shown]
	v_add_f64 v[50:51], v[50:51], v[23:24]
	v_fma_f64 v[27:28], v[27:28], v[90:91], -v[78:79]
	v_add_f64 v[68:69], v[15:16], v[19:20]
	v_lshlrev_b32_sdwa v60, v44, v3 dst_sel:DWORD dst_unused:UNUSED_PAD src0_sel:DWORD src1_sel:WORD_0
	v_fma_f64 v[41:42], v[41:42], v[148:149], v[70:71]
	s_waitcnt lgkmcnt(1)
	v_add_f64 v[74:75], v[7:8], v[76:77]
	v_fma_f64 v[64:65], v[64:65], -0.5, v[7:8]
	v_add_f64 v[7:8], v[25:26], v[33:34]
	v_add_f64 v[72:73], v[9:10], v[54:55]
	v_add_f64 v[70:71], v[17:18], v[21:22]
	s_waitcnt lgkmcnt(0)
	v_add_f64 v[78:79], v[13:14], v[17:18]
	v_add_f64 v[0:1], v[27:28], v[35:36]
	;; [unrolled: 1-line block ×3, first 2 shown]
	v_fma_f64 v[68:69], v[68:69], -0.5, v[11:12]
	v_fma_f64 v[84:85], v[7:8], -0.5, v[52:53]
	v_add_f64 v[52:53], v[52:53], v[25:26]
	v_fma_f64 v[70:71], v[70:71], -0.5, v[13:14]
	v_add_f64 v[13:14], v[78:79], v[21:22]
	v_mad_u16 v78, 0x42, v6, v98
	v_add_f64 v[11:12], v[80:81], v[19:20]
	v_mul_u32_u24_sdwa v79, v99, v4 dst_sel:DWORD dst_unused:UNUSED_PAD src0_sel:WORD_0 src1_sel:DWORD
	v_mul_u32_u24_sdwa v80, v100, v4 dst_sel:DWORD dst_unused:UNUSED_PAD src0_sel:WORD_0 src1_sel:DWORD
	v_add_lshl_u32 v61, v80, v102, 4
	v_fma_f64 v[37:38], v[37:38], v[107:108], v[66:67]
	v_add_f64 v[66:67], v[54:55], v[58:59]
	v_add_f64 v[54:55], v[54:55], -v[58:59]
	v_fma_f64 v[66:67], v[66:67], -0.5, v[9:10]
	ds_read_b128 v[7:10], v142 offset:1760
	s_waitcnt lgkmcnt(0)
	v_fma_f64 v[86:87], v[0:1], -0.5, v[7:8]
	v_add_f64 v[0:1], v[29:30], v[37:38]
	v_add_f64 v[94:95], v[9:10], v[29:30]
	;; [unrolled: 1-line block ×4, first 2 shown]
	v_add_f64 v[56:57], v[76:77], -v[56:57]
	v_add_f64 v[74:75], v[25:26], -v[33:34]
	;; [unrolled: 1-line block ×3, first 2 shown]
	ds_read_b128 v[23:26], v142
	v_add_f64 v[29:30], v[29:30], -v[37:38]
	s_waitcnt lgkmcnt(0)
	s_waitcnt_vscnt null, 0x0
	s_barrier
	buffer_gl0_inv
	v_fma_f64 v[88:89], v[0:1], -0.5, v[9:10]
	v_add_f64 v[9:10], v[72:73], v[58:59]
	v_add_f64 v[58:59], v[17:18], -v[21:22]
	v_add_f64 v[72:73], v[15:16], -v[19:20]
	v_add_f64 v[17:18], v[52:53], v[33:34]
	v_add_f64 v[15:16], v[50:51], v[31:32]
	;; [unrolled: 1-line block ×3, first 2 shown]
	v_add_f64 v[33:34], v[27:28], -v[35:36]
	v_add_f64 v[27:28], v[41:42], v[48:49]
	v_add_f64 v[21:22], v[94:95], v[37:38]
	;; [unrolled: 1-line block ×3, first 2 shown]
	v_add_co_u32 v0, s1, 0xffffffbe, v202
	v_add_co_ci_u32_e64 v1, null, 0, -1, s1
	v_cmp_gt_u16_e64 s1, 0x42, v202
	v_cndmask_b32_e64 v0, v0, v202, s1
	v_cndmask_b32_e64 v1, v1, 0, s1
	v_fma_f64 v[50:51], v[58:59], s[6:7], v[68:69]
	v_fma_f64 v[52:53], v[72:73], s[12:13], v[70:71]
	v_lshlrev_b64 v[1:2], 6, v[0:1]
	v_fma_f64 v[35:36], v[31:32], -0.5, v[23:24]
	v_add_f64 v[23:24], v[23:24], v[39:40]
	v_fma_f64 v[37:38], v[27:28], -0.5, v[25:26]
	v_add_f64 v[25:26], v[25:26], v[41:42]
	v_add_f64 v[41:42], v[41:42], -v[48:49]
	v_add_f64 v[39:40], v[39:40], -v[46:47]
	v_fma_f64 v[27:28], v[29:30], s[12:13], v[86:87]
	v_add_co_u32 v1, s1, s4, v1
	v_add_co_ci_u32_e64 v2, s1, s5, v2, s1
	v_add_f64 v[3:4], v[23:24], v[46:47]
	v_fma_f64 v[23:24], v[29:30], s[6:7], v[86:87]
	v_add_f64 v[5:6], v[25:26], v[48:49]
	v_fma_f64 v[25:26], v[33:34], s[12:13], v[88:89]
	v_fma_f64 v[29:30], v[33:34], s[6:7], v[88:89]
	;; [unrolled: 1-line block ×16, first 2 shown]
	v_lshlrev_b32_sdwa v58, v44, v43 dst_sel:DWORD dst_unused:UNUSED_PAD src0_sel:DWORD src1_sel:WORD_0
	v_lshlrev_b32_sdwa v43, v44, v78 dst_sel:DWORD dst_unused:UNUSED_PAD src0_sel:DWORD src1_sel:WORD_0
	v_add_lshl_u32 v59, v79, v101, 4
	ds_write_b128 v61, v[3:6]
	ds_write_b128 v61, v[31:34] offset:352
	buffer_store_dword v61, off, s[40:43], 0 offset:668 ; 4-byte Folded Spill
	ds_write_b128 v61, v[35:38] offset:704
	ds_write_b128 v59, v[19:22]
	ds_write_b128 v59, v[23:26] offset:352
	buffer_store_dword v59, off, s[40:43], 0 offset:664 ; 4-byte Folded Spill
	ds_write_b128 v59, v[27:30] offset:704
	;; [unrolled: 4-line block ×5, first 2 shown]
	s_waitcnt lgkmcnt(0)
	s_waitcnt_vscnt null, 0x0
	s_barrier
	buffer_gl0_inv
	s_clause 0x2
	global_load_dwordx4 v[46:49], v[1:2], off offset:880
	global_load_dwordx4 v[232:235], v[1:2], off offset:896
	;; [unrolled: 1-line block ×3, first 2 shown]
	v_mul_lo_u16 v3, 0xf9, v45
	global_load_dwordx4 v[152:155], v[1:2], off offset:928
	s_mov_b32 s6, 0x4755a5e
	s_mov_b32 s7, 0x3fe2cf23
	;; [unrolled: 1-line block ×3, first 2 shown]
	v_lshrrev_b16 v1, 14, v3
	s_mov_b32 s12, s6
	v_mul_lo_u16 v2, 0x42, v1
	v_sub_nc_u16 v2, v168, v2
	v_and_b32_e32 v2, 0xff, v2
	v_lshlrev_b32_e32 v43, 6, v2
	s_clause 0x1
	global_load_dwordx4 v[156:159], v43, s[4:5] offset:880
	global_load_dwordx4 v[160:163], v43, s[4:5] offset:896
	ds_read_b128 v[3:6], v142 offset:5280
	ds_read_b128 v[7:10], v142 offset:10560
	;; [unrolled: 1-line block ×7, first 2 shown]
	s_waitcnt vmcnt(5) lgkmcnt(6)
	v_mul_f64 v[31:32], v[5:6], v[48:49]
	v_mul_f64 v[33:34], v[3:4], v[48:49]
	s_waitcnt vmcnt(4) lgkmcnt(5)
	v_mul_f64 v[35:36], v[9:10], v[234:235]
	v_mul_f64 v[37:38], v[7:8], v[234:235]
	;; [unrolled: 3-line block ×3, first 2 shown]
	v_fma_f64 v[31:32], v[3:4], v[46:47], -v[31:32]
	buffer_store_dword v46, off, s[40:43], 0 offset:464 ; 4-byte Folded Spill
	buffer_store_dword v47, off, s[40:43], 0 offset:468 ; 4-byte Folded Spill
	;; [unrolled: 1-line block ×4, first 2 shown]
	v_fma_f64 v[35:36], v[7:8], v[232:233], -v[35:36]
	v_fma_f64 v[37:38], v[9:10], v[232:233], v[37:38]
	v_fma_f64 v[39:40], v[11:12], v[204:205], -v[39:40]
	v_fma_f64 v[41:42], v[13:14], v[204:205], v[41:42]
	ds_read_b128 v[7:10], v142 offset:7040
	ds_read_b128 v[11:14], v142 offset:8800
	v_add_f64 v[88:89], v[35:36], -v[39:40]
	v_fma_f64 v[33:34], v[5:6], v[46:47], v[33:34]
	ds_read_b128 v[3:6], v142 offset:22880
	s_clause 0x1
	global_load_dwordx4 v[212:215], v43, s[4:5] offset:912
	global_load_dwordx4 v[208:211], v43, s[4:5] offset:928
	s_waitcnt vmcnt(4) lgkmcnt(5)
	v_mul_f64 v[47:48], v[21:22], v[154:155]
	v_mul_f64 v[45:46], v[19:20], v[154:155]
	v_fma_f64 v[47:48], v[19:20], v[152:153], -v[47:48]
	s_waitcnt vmcnt(3) lgkmcnt(2)
	v_mul_f64 v[19:20], v[9:10], v[158:159]
	v_fma_f64 v[45:46], v[21:22], v[152:153], v[45:46]
	v_add_f64 v[86:87], v[31:32], -v[47:48]
	v_fma_f64 v[49:50], v[7:8], v[156:157], -v[19:20]
	v_mul_f64 v[7:8], v[7:8], v[158:159]
	v_fma_f64 v[51:52], v[9:10], v[156:157], v[7:8]
	s_waitcnt vmcnt(2)
	v_mul_f64 v[7:8], v[25:26], v[162:163]
	v_fma_f64 v[53:54], v[23:24], v[160:161], -v[7:8]
	v_mul_f64 v[7:8], v[23:24], v[162:163]
	v_fma_f64 v[55:56], v[25:26], v[160:161], v[7:8]
	ds_read_b128 v[7:10], v142 offset:17600
	ds_read_b128 v[19:22], v142 offset:19360
	s_waitcnt vmcnt(1) lgkmcnt(1)
	v_mul_f64 v[23:24], v[9:10], v[214:215]
	v_fma_f64 v[57:58], v[7:8], v[212:213], -v[23:24]
	v_mul_f64 v[7:8], v[7:8], v[214:215]
	v_fma_f64 v[64:65], v[9:10], v[212:213], v[7:8]
	s_waitcnt vmcnt(0)
	v_mul_f64 v[7:8], v[5:6], v[210:211]
	v_fma_f64 v[66:67], v[3:4], v[208:209], -v[7:8]
	v_mul_f64 v[3:4], v[3:4], v[210:211]
	v_fma_f64 v[68:69], v[5:6], v[208:209], v[3:4]
	v_mov_b32_e32 v3, 0xf83f
	v_mul_u32_u24_sdwa v3, v130, v3 dst_sel:DWORD dst_unused:UNUSED_PAD src0_sel:WORD_0 src1_sel:DWORD
	v_lshrrev_b32_e32 v43, 22, v3
	v_mul_lo_u16 v3, 0x42, v43
	v_sub_nc_u16 v59, v130, v3
	v_lshlrev_b16 v3, 6, v59
	v_and_b32_e32 v3, 0xffff, v3
	v_add_co_u32 v3, s1, s4, v3
	v_add_co_ci_u32_e64 v4, null, s5, 0, s1
	s_clause 0x3
	global_load_dwordx4 v[224:227], v[3:4], off offset:880
	global_load_dwordx4 v[216:219], v[3:4], off offset:896
	;; [unrolled: 1-line block ×4, first 2 shown]
	v_cmp_lt_u16_e64 s1, 0x41, v202
	s_waitcnt vmcnt(3)
	v_mul_f64 v[5:6], v[13:14], v[226:227]
	s_waitcnt vmcnt(1) lgkmcnt(0)
	v_mul_f64 v[3:4], v[21:22], v[230:231]
	v_fma_f64 v[70:71], v[11:12], v[224:225], -v[5:6]
	v_mul_f64 v[5:6], v[11:12], v[226:227]
	v_fma_f64 v[78:79], v[19:20], v[228:229], -v[3:4]
	v_mul_f64 v[3:4], v[19:20], v[230:231]
	v_add_f64 v[11:12], v[35:36], v[39:40]
	v_fma_f64 v[72:73], v[13:14], v[224:225], v[5:6]
	v_mul_f64 v[5:6], v[29:30], v[218:219]
	v_fma_f64 v[80:81], v[21:22], v[228:229], v[3:4]
	v_fma_f64 v[74:75], v[27:28], v[216:217], -v[5:6]
	v_mul_f64 v[5:6], v[27:28], v[218:219]
	v_add_f64 v[27:28], v[33:34], -v[45:46]
	v_fma_f64 v[76:77], v[29:30], v[216:217], v[5:6]
	ds_read_b128 v[3:6], v142 offset:24640
	v_add_f64 v[29:30], v[37:38], -v[41:42]
	s_waitcnt vmcnt(0) lgkmcnt(0)
	v_mul_f64 v[7:8], v[5:6], v[222:223]
	v_fma_f64 v[82:83], v[3:4], v[220:221], -v[7:8]
	v_mul_f64 v[3:4], v[3:4], v[222:223]
	v_fma_f64 v[84:85], v[5:6], v[220:221], v[3:4]
	v_add_f64 v[3:4], v[31:32], -v[35:36]
	v_add_f64 v[5:6], v[47:48], -v[39:40]
	v_add_f64 v[19:20], v[3:4], v[5:6]
	v_add_f64 v[3:4], v[33:34], -v[37:38]
	v_add_f64 v[5:6], v[45:46], -v[41:42]
	v_add_f64 v[21:22], v[3:4], v[5:6]
	ds_read_b128 v[3:6], v142
	ds_read_b128 v[7:10], v142 offset:1760
	s_waitcnt lgkmcnt(0)
	s_waitcnt_vscnt null, 0x0
	s_barrier
	buffer_gl0_inv
	v_fma_f64 v[23:24], v[11:12], -0.5, v[3:4]
	v_add_f64 v[11:12], v[37:38], v[41:42]
	v_fma_f64 v[25:26], v[11:12], -0.5, v[5:6]
	v_fma_f64 v[11:12], v[27:28], s[14:15], v[23:24]
	v_fma_f64 v[23:24], v[27:28], s[16:17], v[23:24]
	;; [unrolled: 1-line block ×10, first 2 shown]
	v_add_f64 v[23:24], v[31:32], v[47:48]
	v_fma_f64 v[13:14], v[21:22], s[18:19], v[13:14]
	v_fma_f64 v[21:22], v[21:22], s[18:19], v[25:26]
	v_add_f64 v[25:26], v[33:34], v[45:46]
	v_fma_f64 v[23:24], v[23:24], -0.5, v[3:4]
	v_add_f64 v[3:4], v[3:4], v[31:32]
	v_add_f64 v[31:32], v[35:36], -v[31:32]
	v_fma_f64 v[25:26], v[25:26], -0.5, v[5:6]
	v_add_f64 v[5:6], v[5:6], v[33:34]
	v_add_f64 v[3:4], v[3:4], v[35:36]
	v_add_f64 v[33:34], v[37:38], -v[33:34]
	v_add_f64 v[35:36], v[39:40], -v[47:48]
	v_add_f64 v[5:6], v[5:6], v[37:38]
	v_add_f64 v[3:4], v[3:4], v[39:40]
	v_add_f64 v[37:38], v[41:42], -v[45:46]
	v_fma_f64 v[39:40], v[29:30], s[16:17], v[23:24]
	v_fma_f64 v[23:24], v[29:30], s[14:15], v[23:24]
	;; [unrolled: 1-line block ×4, first 2 shown]
	v_add_f64 v[31:32], v[31:32], v[35:36]
	v_add_f64 v[88:89], v[53:54], -v[57:58]
	v_add_f64 v[5:6], v[5:6], v[41:42]
	v_add_f64 v[3:4], v[3:4], v[47:48]
	;; [unrolled: 1-line block ×3, first 2 shown]
	v_fma_f64 v[35:36], v[27:28], s[6:7], v[39:40]
	v_fma_f64 v[27:28], v[27:28], s[12:13], v[23:24]
	v_fma_f64 v[29:30], v[86:87], s[12:13], v[29:30]
	v_fma_f64 v[37:38], v[86:87], s[6:7], v[25:26]
	v_add_f64 v[47:48], v[55:56], -v[64:65]
	v_add_f64 v[86:87], v[49:50], -v[66:67]
	v_add_f64 v[5:6], v[5:6], v[45:46]
	v_add_f64 v[45:46], v[51:52], -v[68:69]
	v_fma_f64 v[23:24], v[31:32], s[18:19], v[35:36]
	v_fma_f64 v[27:28], v[31:32], s[18:19], v[27:28]
	;; [unrolled: 1-line block ×4, first 2 shown]
	v_add_f64 v[31:32], v[49:50], -v[53:54]
	v_add_f64 v[33:34], v[66:67], -v[57:58]
	v_add_f64 v[35:36], v[31:32], v[33:34]
	v_add_f64 v[31:32], v[51:52], -v[55:56]
	v_add_f64 v[33:34], v[68:69], -v[64:65]
	v_add_f64 v[37:38], v[31:32], v[33:34]
	v_add_f64 v[31:32], v[53:54], v[57:58]
	v_fma_f64 v[39:40], v[31:32], -0.5, v[7:8]
	v_add_f64 v[31:32], v[55:56], v[64:65]
	v_fma_f64 v[41:42], v[31:32], -0.5, v[9:10]
	v_fma_f64 v[31:32], v[45:46], s[14:15], v[39:40]
	v_fma_f64 v[39:40], v[45:46], s[16:17], v[39:40]
	;; [unrolled: 1-line block ×10, first 2 shown]
	v_add_f64 v[39:40], v[49:50], v[66:67]
	v_fma_f64 v[33:34], v[37:38], s[18:19], v[33:34]
	v_fma_f64 v[37:38], v[37:38], s[18:19], v[41:42]
	v_add_f64 v[41:42], v[51:52], v[68:69]
	v_fma_f64 v[39:40], v[39:40], -0.5, v[7:8]
	v_add_f64 v[7:8], v[7:8], v[49:50]
	v_add_f64 v[49:50], v[53:54], -v[49:50]
	v_fma_f64 v[41:42], v[41:42], -0.5, v[9:10]
	v_add_f64 v[9:10], v[9:10], v[51:52]
	v_add_f64 v[7:8], v[7:8], v[53:54]
	v_add_f64 v[51:52], v[55:56], -v[51:52]
	v_add_f64 v[53:54], v[57:58], -v[66:67]
	v_add_f64 v[9:10], v[9:10], v[55:56]
	v_add_f64 v[7:8], v[7:8], v[57:58]
	v_add_f64 v[55:56], v[64:65], -v[68:69]
	v_fma_f64 v[57:58], v[47:48], s[16:17], v[39:40]
	v_fma_f64 v[39:40], v[47:48], s[14:15], v[39:40]
	;; [unrolled: 1-line block ×4, first 2 shown]
	v_add_f64 v[49:50], v[49:50], v[53:54]
	v_add_f64 v[88:89], v[74:75], -v[78:79]
	v_add_f64 v[9:10], v[9:10], v[64:65]
	v_add_f64 v[7:8], v[7:8], v[66:67]
	;; [unrolled: 1-line block ×3, first 2 shown]
	v_fma_f64 v[53:54], v[45:46], s[6:7], v[57:58]
	v_fma_f64 v[45:46], v[45:46], s[12:13], v[39:40]
	;; [unrolled: 1-line block ×4, first 2 shown]
	v_add_f64 v[66:67], v[72:73], -v[84:85]
	v_add_f64 v[86:87], v[70:71], -v[82:83]
	v_add_f64 v[9:10], v[9:10], v[68:69]
	v_add_f64 v[68:69], v[76:77], -v[80:81]
	v_fma_f64 v[39:40], v[49:50], s[18:19], v[53:54]
	v_fma_f64 v[45:46], v[49:50], s[18:19], v[45:46]
	;; [unrolled: 1-line block ×4, first 2 shown]
	v_add_f64 v[49:50], v[70:71], -v[74:75]
	v_add_f64 v[51:52], v[82:83], -v[78:79]
	v_add_f64 v[53:54], v[49:50], v[51:52]
	v_add_f64 v[49:50], v[72:73], -v[76:77]
	v_add_f64 v[51:52], v[84:85], -v[80:81]
	v_add_f64 v[55:56], v[49:50], v[51:52]
	v_add_f64 v[49:50], v[74:75], v[78:79]
	v_fma_f64 v[57:58], v[49:50], -0.5, v[15:16]
	v_add_f64 v[49:50], v[76:77], v[80:81]
	v_fma_f64 v[64:65], v[49:50], -0.5, v[17:18]
	v_fma_f64 v[49:50], v[66:67], s[14:15], v[57:58]
	v_fma_f64 v[57:58], v[66:67], s[16:17], v[57:58]
	v_fma_f64 v[51:52], v[86:87], s[16:17], v[64:65]
	v_fma_f64 v[49:50], v[68:69], s[6:7], v[49:50]
	v_fma_f64 v[57:58], v[68:69], s[12:13], v[57:58]
	v_fma_f64 v[64:65], v[86:87], s[14:15], v[64:65]
	v_fma_f64 v[51:52], v[88:89], s[12:13], v[51:52]
	v_fma_f64 v[49:50], v[53:54], s[18:19], v[49:50]
	v_fma_f64 v[53:54], v[53:54], s[18:19], v[57:58]
	v_add_f64 v[57:58], v[70:71], v[82:83]
	v_fma_f64 v[64:65], v[88:89], s[6:7], v[64:65]
	v_fma_f64 v[51:52], v[55:56], s[18:19], v[51:52]
	v_fma_f64 v[57:58], v[57:58], -0.5, v[15:16]
	v_add_f64 v[15:16], v[15:16], v[70:71]
	v_fma_f64 v[55:56], v[55:56], s[18:19], v[64:65]
	v_add_f64 v[64:65], v[72:73], v[84:85]
	v_add_f64 v[70:71], v[74:75], -v[70:71]
	v_add_f64 v[15:16], v[15:16], v[74:75]
	v_add_f64 v[74:75], v[78:79], -v[82:83]
	v_fma_f64 v[64:65], v[64:65], -0.5, v[17:18]
	v_add_f64 v[17:18], v[17:18], v[72:73]
	v_add_f64 v[72:73], v[76:77], -v[72:73]
	v_add_f64 v[15:16], v[15:16], v[78:79]
	v_fma_f64 v[78:79], v[68:69], s[16:17], v[57:58]
	v_fma_f64 v[57:58], v[68:69], s[14:15], v[57:58]
	v_add_f64 v[17:18], v[17:18], v[76:77]
	v_add_f64 v[76:77], v[80:81], -v[84:85]
	v_fma_f64 v[68:69], v[88:89], s[14:15], v[64:65]
	v_fma_f64 v[64:65], v[88:89], s[16:17], v[64:65]
	v_add_f64 v[70:71], v[70:71], v[74:75]
	v_add_f64 v[15:16], v[15:16], v[82:83]
	v_fma_f64 v[74:75], v[66:67], s[6:7], v[78:79]
	v_fma_f64 v[57:58], v[66:67], s[12:13], v[57:58]
	v_add_f64 v[17:18], v[17:18], v[80:81]
	v_add_f64 v[72:73], v[72:73], v[76:77]
	v_fma_f64 v[66:67], v[86:87], s[12:13], v[68:69]
	v_fma_f64 v[76:77], v[86:87], s[6:7], v[64:65]
	;; [unrolled: 1-line block ×4, first 2 shown]
	v_cndmask_b32_e64 v57, 0, 0x14a, s1
	v_add_f64 v[17:18], v[17:18], v[84:85]
	v_fma_f64 v[66:67], v[72:73], s[18:19], v[66:67]
	v_fma_f64 v[70:71], v[72:73], s[18:19], v[76:77]
	v_add_lshl_u32 v127, v0, v57, 4
	v_mov_b32_e32 v0, 0x14a
	ds_write_b128 v127, v[3:6]
	ds_write_b128 v127, v[11:14] offset:1056
	ds_write_b128 v127, v[23:26] offset:2112
	;; [unrolled: 1-line block ×4, first 2 shown]
	v_mul_u32_u24_sdwa v0, v1, v0 dst_sel:DWORD dst_unused:UNUSED_PAD src0_sel:WORD_0 src1_sel:DWORD
	v_add_lshl_u32 v126, v0, v2, 4
	v_mad_u16 v0, 0x14a, v43, v59
	ds_write_b128 v126, v[7:10]
	ds_write_b128 v126, v[31:34] offset:1056
	ds_write_b128 v126, v[39:42] offset:2112
	;; [unrolled: 1-line block ×4, first 2 shown]
	v_lshlrev_b32_sdwa v2, v44, v0 dst_sel:DWORD dst_unused:UNUSED_PAD src0_sel:DWORD src1_sel:WORD_0
	v_lshlrev_b32_e32 v0, 6, v202
	buffer_store_dword v202, off, s[40:43], 0 offset:168 ; 4-byte Folded Spill
	ds_write_b128 v2, v[15:18]
	v_add_co_u32 v4, s1, s4, v0
	v_add_co_ci_u32_e64 v5, null, s5, 0, s1
	ds_write_b128 v2, v[49:52] offset:1056
	ds_write_b128 v2, v[64:67] offset:2112
	;; [unrolled: 1-line block ×3, first 2 shown]
	v_add_co_u32 v0, s1, 0x1000, v4
	v_add_co_ci_u32_e64 v1, s1, 0, v5, s1
	buffer_store_dword v2, off, s[40:43], 0 offset:672 ; 4-byte Folded Spill
	ds_write_b128 v2, v[53:56] offset:4224
	s_waitcnt lgkmcnt(0)
	s_waitcnt_vscnt null, 0x0
	s_barrier
	buffer_gl0_inv
	global_load_dwordx4 v[12:15], v[0:1], off offset:1008
	v_add_co_u32 v4, s1, 0x13f0, v4
	v_add_co_ci_u32_e64 v5, s1, 0, v5, s1
	ds_read_b128 v[6:9], v142 offset:3520
	global_load_dwordx4 v[38:41], v[4:5], off offset:48
	ds_read_b128 v[0:3], v142 offset:5280
	s_waitcnt vmcnt(1) lgkmcnt(0)
	v_mul_f64 v[10:11], v[2:3], v[14:15]
	v_fma_f64 v[26:27], v[0:1], v[12:13], -v[10:11]
	v_mul_f64 v[0:1], v[0:1], v[14:15]
	buffer_store_dword v12, off, s[40:43], 0 offset:508 ; 4-byte Folded Spill
	buffer_store_dword v13, off, s[40:43], 0 offset:512 ; 4-byte Folded Spill
	;; [unrolled: 1-line block ×4, first 2 shown]
	s_clause 0x1
	global_load_dwordx4 v[236:239], v[4:5], off offset:16
	global_load_dwordx4 v[172:175], v[4:5], off offset:32
	v_fma_f64 v[28:29], v[2:3], v[12:13], v[0:1]
	ds_read_b128 v[0:3], v142 offset:10560
	ds_read_b128 v[10:13], v142 offset:12320
	s_waitcnt vmcnt(1) lgkmcnt(1)
	v_mul_f64 v[4:5], v[2:3], v[238:239]
	v_fma_f64 v[4:5], v[0:1], v[236:237], -v[4:5]
	v_mul_f64 v[0:1], v[0:1], v[238:239]
	v_fma_f64 v[30:31], v[2:3], v[236:237], v[0:1]
	ds_read_b128 v[0:3], v142 offset:15840
	ds_read_b128 v[14:17], v142 offset:14080
	s_waitcnt vmcnt(0) lgkmcnt(1)
	v_mul_f64 v[18:19], v[2:3], v[174:175]
	v_fma_f64 v[32:33], v[0:1], v[172:173], -v[18:19]
	v_mul_f64 v[0:1], v[0:1], v[174:175]
	v_add_f64 v[82:83], v[4:5], -v[32:33]
	v_fma_f64 v[34:35], v[2:3], v[172:173], v[0:1]
	ds_read_b128 v[0:3], v142 offset:21120
	ds_read_b128 v[18:21], v142 offset:22880
	s_waitcnt lgkmcnt(1)
	v_mul_f64 v[22:23], v[0:1], v[40:41]
	v_add_f64 v[78:79], v[30:31], -v[34:35]
	v_fma_f64 v[36:37], v[2:3], v[38:39], v[22:23]
	v_mul_f64 v[2:3], v[2:3], v[40:41]
	buffer_store_dword v38, off, s[40:43], 0 offset:524 ; 4-byte Folded Spill
	buffer_store_dword v39, off, s[40:43], 0 offset:528 ; 4-byte Folded Spill
	;; [unrolled: 1-line block ×4, first 2 shown]
	ds_read_b128 v[22:25], v142 offset:8800
	v_add_f64 v[76:77], v[28:29], -v[36:37]
	v_fma_f64 v[38:39], v[0:1], v[38:39], -v[2:3]
	v_lshlrev_b32_e32 v0, 6, v168
	v_add_co_u32 v2, s1, s4, v0
	v_add_co_ci_u32_e64 v3, null, s5, 0, s1
	v_add_co_u32 v0, s1, 0x1000, v2
	v_add_co_ci_u32_e64 v1, s1, 0, v3, s1
	v_add_co_u32 v40, s1, 0x13f0, v2
	v_add_co_ci_u32_e64 v41, s1, 0, v3, s1
	s_clause 0x1
	global_load_dwordx4 v[184:187], v[0:1], off offset:1008
	global_load_dwordx4 v[168:171], v[40:41], off offset:48
	ds_read_b128 v[0:3], v142 offset:7040
	s_clause 0x1
	global_load_dwordx4 v[188:191], v[40:41], off offset:16
	global_load_dwordx4 v[180:183], v[40:41], off offset:32
	v_add_f64 v[80:81], v[26:27], -v[38:39]
	s_waitcnt vmcnt(3) lgkmcnt(0)
	v_mul_f64 v[42:43], v[2:3], v[186:187]
	v_fma_f64 v[42:43], v[0:1], v[184:185], -v[42:43]
	v_mul_f64 v[0:1], v[0:1], v[186:187]
	v_fma_f64 v[44:45], v[2:3], v[184:185], v[0:1]
	s_waitcnt vmcnt(1)
	v_mul_f64 v[0:1], v[12:13], v[190:191]
	v_fma_f64 v[40:41], v[10:11], v[188:189], -v[0:1]
	v_mul_f64 v[0:1], v[10:11], v[190:191]
	v_fma_f64 v[46:47], v[12:13], v[188:189], v[0:1]
	ds_read_b128 v[0:3], v142 offset:17600
	ds_read_b128 v[10:13], v142 offset:19360
	s_waitcnt vmcnt(0) lgkmcnt(1)
	v_mul_f64 v[48:49], v[2:3], v[182:183]
	v_fma_f64 v[48:49], v[0:1], v[180:181], -v[48:49]
	v_mul_f64 v[0:1], v[0:1], v[182:183]
	v_fma_f64 v[50:51], v[2:3], v[180:181], v[0:1]
	v_mul_f64 v[0:1], v[20:21], v[170:171]
	v_fma_f64 v[52:53], v[18:19], v[168:169], -v[0:1]
	v_mul_f64 v[0:1], v[18:19], v[170:171]
	v_fma_f64 v[54:55], v[20:21], v[168:169], v[0:1]
	v_lshlrev_b64 v[0:1], 6, v[130:131]
	v_add_co_u32 v2, s1, s4, v0
	v_add_co_ci_u32_e64 v3, s1, s5, v1, s1
	v_add_co_u32 v0, s1, 0x1000, v2
	v_add_co_ci_u32_e64 v1, s1, 0, v3, s1
	;; [unrolled: 2-line block ×3, first 2 shown]
	s_clause 0x3
	global_load_dwordx4 v[196:199], v[0:1], off offset:1008
	global_load_dwordx4 v[176:179], v[2:3], off offset:48
	;; [unrolled: 1-line block ×4, first 2 shown]
	s_waitcnt vmcnt(3)
	v_mul_f64 v[0:1], v[24:25], v[198:199]
	v_fma_f64 v[56:57], v[22:23], v[196:197], -v[0:1]
	v_mul_f64 v[0:1], v[22:23], v[198:199]
	v_fma_f64 v[58:59], v[24:25], v[196:197], v[0:1]
	s_waitcnt vmcnt(1)
	v_mul_f64 v[0:1], v[16:17], v[202:203]
	v_fma_f64 v[64:65], v[14:15], v[200:201], -v[0:1]
	v_mul_f64 v[0:1], v[14:15], v[202:203]
	v_add_f64 v[14:15], v[4:5], v[32:33]
	v_fma_f64 v[66:67], v[16:17], v[200:201], v[0:1]
	s_waitcnt vmcnt(0) lgkmcnt(0)
	v_mul_f64 v[0:1], v[12:13], v[194:195]
	v_fma_f64 v[68:69], v[10:11], v[192:193], -v[0:1]
	v_mul_f64 v[0:1], v[10:11], v[194:195]
	v_fma_f64 v[70:71], v[12:13], v[192:193], v[0:1]
	ds_read_b128 v[0:3], v142 offset:24640
	s_waitcnt lgkmcnt(0)
	v_mul_f64 v[10:11], v[2:3], v[178:179]
	v_fma_f64 v[72:73], v[0:1], v[176:177], -v[10:11]
	v_mul_f64 v[0:1], v[0:1], v[178:179]
	v_fma_f64 v[74:75], v[2:3], v[176:177], v[0:1]
	v_add_f64 v[0:1], v[26:27], -v[4:5]
	v_add_f64 v[2:3], v[38:39], -v[32:33]
	v_add_f64 v[18:19], v[0:1], v[2:3]
	v_add_f64 v[0:1], v[28:29], -v[30:31]
	v_add_f64 v[2:3], v[36:37], -v[34:35]
	v_add_f64 v[20:21], v[0:1], v[2:3]
	ds_read_b128 v[0:3], v142
	ds_read_b128 v[10:13], v142 offset:1760
	s_waitcnt lgkmcnt(1)
	v_fma_f64 v[22:23], v[14:15], -0.5, v[0:1]
	v_add_f64 v[14:15], v[30:31], v[34:35]
	v_fma_f64 v[24:25], v[14:15], -0.5, v[2:3]
	v_fma_f64 v[14:15], v[76:77], s[14:15], v[22:23]
	v_fma_f64 v[22:23], v[76:77], s[16:17], v[22:23]
	;; [unrolled: 1-line block ×10, first 2 shown]
	v_add_f64 v[22:23], v[26:27], v[38:39]
	v_fma_f64 v[16:17], v[20:21], s[18:19], v[16:17]
	v_fma_f64 v[20:21], v[20:21], s[18:19], v[24:25]
	v_add_f64 v[24:25], v[28:29], v[36:37]
	v_fma_f64 v[22:23], v[22:23], -0.5, v[0:1]
	v_add_f64 v[0:1], v[0:1], v[26:27]
	v_add_f64 v[26:27], v[4:5], -v[26:27]
	v_fma_f64 v[24:25], v[24:25], -0.5, v[2:3]
	v_add_f64 v[2:3], v[2:3], v[28:29]
	v_add_f64 v[0:1], v[0:1], v[4:5]
	v_add_f64 v[4:5], v[30:31], -v[28:29]
	v_add_f64 v[28:29], v[32:33], -v[38:39]
	v_add_f64 v[2:3], v[2:3], v[30:31]
	v_add_f64 v[30:31], v[34:35], -v[36:37]
	v_add_f64 v[0:1], v[0:1], v[32:33]
	v_fma_f64 v[32:33], v[78:79], s[16:17], v[22:23]
	v_fma_f64 v[22:23], v[78:79], s[14:15], v[22:23]
	v_add_f64 v[26:27], v[26:27], v[28:29]
	v_add_f64 v[78:79], v[46:47], -v[50:51]
	v_add_f64 v[2:3], v[2:3], v[34:35]
	v_fma_f64 v[34:35], v[82:83], s[14:15], v[24:25]
	v_fma_f64 v[24:25], v[82:83], s[16:17], v[24:25]
	v_add_f64 v[4:5], v[4:5], v[30:31]
	v_fma_f64 v[28:29], v[76:77], s[6:7], v[32:33]
	v_fma_f64 v[30:31], v[76:77], s[12:13], v[22:23]
	v_add_f64 v[0:1], v[0:1], v[38:39]
	v_add_f64 v[76:77], v[44:45], -v[54:55]
	v_add_f64 v[82:83], v[40:41], -v[48:49]
	v_add_f64 v[2:3], v[2:3], v[36:37]
	v_fma_f64 v[32:33], v[80:81], s[12:13], v[34:35]
	v_fma_f64 v[34:35], v[80:81], s[6:7], v[24:25]
	v_add_f64 v[80:81], v[42:43], -v[52:53]
	v_fma_f64 v[22:23], v[26:27], s[18:19], v[28:29]
	v_fma_f64 v[26:27], v[26:27], s[18:19], v[30:31]
	v_add_f64 v[30:31], v[52:53], -v[48:49]
	;; [unrolled: 3-line block ×3, first 2 shown]
	v_add_f64 v[32:33], v[54:55], -v[50:51]
	v_add_f64 v[4:5], v[4:5], v[30:31]
	v_add_f64 v[30:31], v[44:45], -v[46:47]
	v_add_f64 v[36:37], v[30:31], v[32:33]
	v_add_f64 v[30:31], v[40:41], v[48:49]
	s_waitcnt lgkmcnt(0)
	v_fma_f64 v[34:35], v[30:31], -0.5, v[10:11]
	v_add_f64 v[30:31], v[46:47], v[50:51]
	v_fma_f64 v[38:39], v[30:31], -0.5, v[12:13]
	v_fma_f64 v[30:31], v[76:77], s[14:15], v[34:35]
	v_fma_f64 v[34:35], v[76:77], s[16:17], v[34:35]
	v_fma_f64 v[32:33], v[80:81], s[16:17], v[38:39]
	v_fma_f64 v[38:39], v[80:81], s[14:15], v[38:39]
	v_fma_f64 v[30:31], v[78:79], s[6:7], v[30:31]
	v_fma_f64 v[34:35], v[78:79], s[12:13], v[34:35]
	v_fma_f64 v[32:33], v[82:83], s[12:13], v[32:33]
	v_fma_f64 v[38:39], v[82:83], s[6:7], v[38:39]
	v_fma_f64 v[30:31], v[4:5], s[18:19], v[30:31]
	v_fma_f64 v[34:35], v[4:5], s[18:19], v[34:35]
	v_add_f64 v[4:5], v[42:43], v[52:53]
	v_fma_f64 v[32:33], v[36:37], s[18:19], v[32:33]
	v_fma_f64 v[36:37], v[36:37], s[18:19], v[38:39]
	v_add_f64 v[38:39], v[44:45], v[54:55]
	v_fma_f64 v[4:5], v[4:5], -0.5, v[10:11]
	v_add_f64 v[10:11], v[10:11], v[42:43]
	v_add_f64 v[42:43], v[40:41], -v[42:43]
	v_fma_f64 v[38:39], v[38:39], -0.5, v[12:13]
	v_add_f64 v[12:13], v[12:13], v[44:45]
	v_add_f64 v[10:11], v[10:11], v[40:41]
	v_add_f64 v[40:41], v[46:47], -v[44:45]
	v_add_f64 v[44:45], v[48:49], -v[52:53]
	v_add_f64 v[12:13], v[12:13], v[46:47]
	v_add_f64 v[46:47], v[50:51], -v[54:55]
	v_add_f64 v[10:11], v[10:11], v[48:49]
	v_fma_f64 v[48:49], v[78:79], s[16:17], v[4:5]
	v_fma_f64 v[4:5], v[78:79], s[14:15], v[4:5]
	v_add_f64 v[42:43], v[42:43], v[44:45]
	v_add_f64 v[78:79], v[64:65], -v[68:69]
	v_add_f64 v[12:13], v[12:13], v[50:51]
	v_fma_f64 v[50:51], v[82:83], s[14:15], v[38:39]
	v_fma_f64 v[38:39], v[82:83], s[16:17], v[38:39]
	v_add_f64 v[44:45], v[40:41], v[46:47]
	v_fma_f64 v[40:41], v[76:77], s[6:7], v[48:49]
	v_fma_f64 v[4:5], v[76:77], s[12:13], v[4:5]
	v_add_f64 v[10:11], v[10:11], v[52:53]
	v_add_f64 v[52:53], v[66:67], -v[70:71]
	v_add_f64 v[12:13], v[12:13], v[54:55]
	v_fma_f64 v[46:47], v[80:81], s[12:13], v[50:51]
	v_fma_f64 v[48:49], v[80:81], s[6:7], v[38:39]
	v_add_f64 v[50:51], v[58:59], v[74:75]
	v_fma_f64 v[38:39], v[42:43], s[18:19], v[40:41]
	v_fma_f64 v[42:43], v[42:43], s[18:19], v[4:5]
	v_add_f64 v[4:5], v[64:65], -v[56:57]
	v_add_f64 v[54:55], v[58:59], -v[74:75]
	;; [unrolled: 1-line block ×3, first 2 shown]
	v_fma_f64 v[40:41], v[44:45], s[18:19], v[46:47]
	v_add_f64 v[46:47], v[68:69], -v[72:73]
	v_fma_f64 v[44:45], v[44:45], s[18:19], v[48:49]
	v_add_f64 v[48:49], v[70:71], -v[74:75]
	v_fma_f64 v[50:51], v[50:51], -0.5, v[8:9]
	v_add_f64 v[4:5], v[4:5], v[46:47]
	v_add_f64 v[46:47], v[66:67], -v[58:59]
	v_fma_f64 v[82:83], v[78:79], s[14:15], v[50:51]
	v_fma_f64 v[50:51], v[78:79], s[16:17], v[50:51]
	v_add_f64 v[46:47], v[46:47], v[48:49]
	v_add_f64 v[48:49], v[56:57], v[72:73]
	v_fma_f64 v[82:83], v[80:81], s[12:13], v[82:83]
	v_fma_f64 v[50:51], v[80:81], s[6:7], v[50:51]
	v_fma_f64 v[48:49], v[48:49], -0.5, v[6:7]
	v_fma_f64 v[250:251], v[46:47], s[18:19], v[82:83]
	v_fma_f64 v[246:247], v[46:47], s[18:19], v[50:51]
	v_add_f64 v[50:51], v[58:59], -v[66:67]
	v_fma_f64 v[76:77], v[52:53], s[16:17], v[48:49]
	v_fma_f64 v[48:49], v[52:53], s[14:15], v[48:49]
	;; [unrolled: 1-line block ×6, first 2 shown]
	v_add_f64 v[4:5], v[64:65], v[68:69]
	v_fma_f64 v[46:47], v[4:5], -0.5, v[6:7]
	v_add_f64 v[4:5], v[66:67], v[70:71]
	v_fma_f64 v[48:49], v[4:5], -0.5, v[8:9]
	v_add_f64 v[4:5], v[6:7], v[56:57]
	v_add_f64 v[6:7], v[8:9], v[58:59]
	v_add_f64 v[8:9], v[56:57], -v[64:65]
	v_add_f64 v[56:57], v[72:73], -v[68:69]
	;; [unrolled: 1-line block ×3, first 2 shown]
	v_add_f64 v[4:5], v[4:5], v[64:65]
	v_add_f64 v[6:7], v[6:7], v[66:67]
	v_fma_f64 v[64:65], v[54:55], s[14:15], v[46:47]
	v_fma_f64 v[46:47], v[54:55], s[16:17], v[46:47]
	;; [unrolled: 1-line block ×4, first 2 shown]
	v_add_f64 v[8:9], v[8:9], v[56:57]
	v_add_f64 v[50:51], v[50:51], v[58:59]
	;; [unrolled: 1-line block ×4, first 2 shown]
	v_fma_f64 v[56:57], v[52:53], s[6:7], v[64:65]
	v_fma_f64 v[46:47], v[52:53], s[12:13], v[46:47]
	;; [unrolled: 1-line block ×4, first 2 shown]
	v_add_f64 v[4:5], v[4:5], v[72:73]
	v_add_f64 v[6:7], v[6:7], v[74:75]
	v_fma_f64 v[240:241], v[8:9], s[18:19], v[56:57]
	v_fma_f64 v[252:253], v[8:9], s[18:19], v[46:47]
	;; [unrolled: 1-line block ×4, first 2 shown]
	ds_write_b128 v142, v[0:3]
	ds_write_b128 v142, v[10:13] offset:1760
	ds_write_b128 v142, v[4:7] offset:3520
	ds_write_b128 v142, v[14:17] offset:5280
	ds_write_b128 v142, v[22:25] offset:10560
	ds_write_b128 v142, v[26:29] offset:15840
	ds_write_b128 v142, v[18:21] offset:21120
	ds_write_b128 v142, v[30:33] offset:7040
	ds_write_b128 v142, v[38:41] offset:12320
	ds_write_b128 v142, v[42:45] offset:17600
	ds_write_b128 v142, v[34:37] offset:22880
	v_add_co_u32 v0, s1, 0x6000, v128
	v_add_co_ci_u32_e64 v1, s1, 0, v129, s1
	ds_write_b128 v142, v[240:243] offset:8800
	ds_write_b128 v142, v[248:251] offset:14080
	;; [unrolled: 1-line block ×4, first 2 shown]
	s_waitcnt lgkmcnt(0)
	s_waitcnt_vscnt null, 0x0
	s_barrier
	buffer_gl0_inv
	buffer_store_dword v0, off, s[40:43], 0 offset:696 ; 4-byte Folded Spill
	buffer_store_dword v1, off, s[40:43], 0 offset:700 ; 4-byte Folded Spill
	global_load_dwordx4 v[0:3], v[0:1], off offset:1824
	ds_read_b128 v[4:7], v142
	ds_read_b128 v[8:11], v142 offset:2400
	s_waitcnt vmcnt(0) lgkmcnt(1)
	v_mul_f64 v[12:13], v[6:7], v[2:3]
	v_mul_f64 v[14:15], v[4:5], v[2:3]
	v_fma_f64 v[2:3], v[4:5], v[0:1], -v[12:13]
	v_fma_f64 v[4:5], v[6:7], v[0:1], v[14:15]
	v_add_co_u32 v0, s1, 0x7000, v128
	v_add_co_ci_u32_e64 v1, s1, 0, v129, s1
	v_add_co_u32 v6, s1, 0x7800, v128
	v_add_co_ci_u32_e64 v7, s1, 0, v129, s1
	s_clause 0x1
	global_load_dwordx4 v[12:15], v[0:1], off offset:128
	global_load_dwordx4 v[16:19], v[6:7], off offset:480
	s_waitcnt vmcnt(1) lgkmcnt(0)
	v_mul_f64 v[0:1], v[10:11], v[14:15]
	v_mul_f64 v[14:15], v[8:9], v[14:15]
	v_fma_f64 v[6:7], v[8:9], v[12:13], -v[0:1]
	v_fma_f64 v[8:9], v[10:11], v[12:13], v[14:15]
	ds_read_b128 v[10:13], v142 offset:4800
	ds_read_b128 v[20:23], v142 offset:7200
	s_waitcnt vmcnt(0) lgkmcnt(1)
	v_mul_f64 v[0:1], v[12:13], v[18:19]
	v_mul_f64 v[14:15], v[10:11], v[18:19]
	v_fma_f64 v[10:11], v[10:11], v[16:17], -v[0:1]
	v_add_co_u32 v0, s1, 0x8000, v128
	v_add_co_ci_u32_e64 v1, s1, 0, v129, s1
	v_add_co_u32 v18, s1, 0x8800, v128
	v_add_co_ci_u32_e64 v19, s1, 0, v129, s1
	v_fma_f64 v[12:13], v[12:13], v[16:17], v[14:15]
	s_clause 0x1
	global_load_dwordx4 v[14:17], v[0:1], off offset:832
	global_load_dwordx4 v[24:27], v[18:19], off offset:1184
	s_waitcnt vmcnt(1) lgkmcnt(0)
	v_mul_f64 v[0:1], v[22:23], v[16:17]
	v_mul_f64 v[18:19], v[20:21], v[16:17]
	v_fma_f64 v[16:17], v[20:21], v[14:15], -v[0:1]
	v_fma_f64 v[18:19], v[22:23], v[14:15], v[18:19]
	ds_read_b128 v[20:23], v142 offset:9600
	ds_read_b128 v[28:31], v142 offset:12000
	s_waitcnt vmcnt(0) lgkmcnt(1)
	v_mul_f64 v[0:1], v[22:23], v[26:27]
	v_mul_f64 v[14:15], v[20:21], v[26:27]
	v_fma_f64 v[20:21], v[20:21], v[24:25], -v[0:1]
	v_add_co_u32 v0, s1, 0x9000, v128
	v_add_co_ci_u32_e64 v1, s1, 0, v129, s1
	v_fma_f64 v[22:23], v[22:23], v[24:25], v[14:15]
	v_add_co_u32 v14, s1, 0x9800, v128
	v_add_co_ci_u32_e64 v15, s1, 0, v129, s1
	s_clause 0x1
	global_load_dwordx4 v[24:27], v[0:1], off offset:1536
	global_load_dwordx4 v[32:35], v[14:15], off offset:1888
	ds_read_b128 v[36:39], v142 offset:14400
	ds_read_b128 v[40:43], v142 offset:16800
	s_waitcnt vmcnt(1) lgkmcnt(2)
	v_mul_f64 v[0:1], v[30:31], v[26:27]
	v_mul_f64 v[14:15], v[28:29], v[26:27]
	v_fma_f64 v[26:27], v[28:29], v[24:25], -v[0:1]
	s_waitcnt vmcnt(0) lgkmcnt(1)
	v_mul_f64 v[0:1], v[38:39], v[34:35]
	v_fma_f64 v[28:29], v[30:31], v[24:25], v[14:15]
	v_mul_f64 v[14:15], v[36:37], v[34:35]
	v_fma_f64 v[30:31], v[36:37], v[32:33], -v[0:1]
	v_add_co_u32 v0, s1, 0xa800, v128
	v_add_co_ci_u32_e64 v1, s1, 0, v129, s1
	v_fma_f64 v[32:33], v[38:39], v[32:33], v[14:15]
	v_add_co_u32 v14, s1, 0xb000, v128
	v_add_co_ci_u32_e64 v15, s1, 0, v129, s1
	s_clause 0x1
	global_load_dwordx4 v[34:37], v[0:1], off offset:192
	global_load_dwordx4 v[44:47], v[14:15], off offset:544
	s_waitcnt vmcnt(1) lgkmcnt(0)
	v_mul_f64 v[0:1], v[42:43], v[36:37]
	v_mul_f64 v[14:15], v[40:41], v[36:37]
	v_fma_f64 v[36:37], v[40:41], v[34:35], -v[0:1]
	v_fma_f64 v[38:39], v[42:43], v[34:35], v[14:15]
	ds_read_b128 v[40:43], v142 offset:19200
	ds_read_b128 v[48:51], v142 offset:21600
	s_waitcnt vmcnt(0) lgkmcnt(1)
	v_mul_f64 v[0:1], v[42:43], v[46:47]
	v_mul_f64 v[14:15], v[40:41], v[46:47]
	v_fma_f64 v[40:41], v[40:41], v[44:45], -v[0:1]
	v_add_co_u32 v0, s1, 0xb800, v128
	v_add_co_ci_u32_e64 v1, s1, 0, v129, s1
	v_fma_f64 v[42:43], v[42:43], v[44:45], v[14:15]
	v_add_co_u32 v14, s1, 0xc000, v128
	v_add_co_ci_u32_e64 v15, s1, 0, v129, s1
	s_clause 0x1
	global_load_dwordx4 v[44:47], v[0:1], off offset:896
	global_load_dwordx4 v[52:55], v[14:15], off offset:1248
	ds_read_b128 v[56:59], v142 offset:24000
	s_waitcnt vmcnt(1) lgkmcnt(1)
	v_mul_f64 v[0:1], v[50:51], v[46:47]
	v_mul_f64 v[14:15], v[48:49], v[46:47]
	v_fma_f64 v[46:47], v[48:49], v[44:45], -v[0:1]
	v_fma_f64 v[48:49], v[50:51], v[44:45], v[14:15]
	s_waitcnt vmcnt(0) lgkmcnt(0)
	v_mul_f64 v[0:1], v[58:59], v[54:55]
	v_mul_f64 v[14:15], v[56:57], v[54:55]
	v_fma_f64 v[50:51], v[56:57], v[52:53], -v[0:1]
	v_fma_f64 v[52:53], v[58:59], v[52:53], v[14:15]
	ds_write_b128 v142, v[2:5]
	ds_write_b128 v142, v[6:9] offset:2400
	ds_write_b128 v142, v[10:13] offset:4800
	ds_write_b128 v142, v[16:19] offset:7200
	ds_write_b128 v142, v[20:23] offset:9600
	ds_write_b128 v142, v[26:29] offset:12000
	ds_write_b128 v142, v[30:33] offset:14400
	ds_write_b128 v142, v[36:39] offset:16800
	ds_write_b128 v142, v[40:43] offset:19200
	ds_write_b128 v142, v[46:49] offset:21600
	ds_write_b128 v142, v[50:53] offset:24000
	s_and_saveexec_b32 s4, vcc_lo
	s_cbranch_execz .LBB0_13
; %bb.12:
	v_add_co_u32 v36, s1, 0x6720, v128
	v_add_co_ci_u32_e64 v37, s1, 0, v129, s1
	v_add_co_u32 v4, s1, 0x1000, v36
	v_add_co_ci_u32_e64 v5, s1, 0, v37, s1
	;; [unrolled: 2-line block ×4, first 2 shown]
	v_add_co_u32 v16, s1, 0x2800, v36
	s_clause 0x1
	global_load_dwordx4 v[0:3], v[36:37], off offset:1760
	global_load_dwordx4 v[4:7], v[4:5], off offset:64
	v_add_co_ci_u32_e64 v17, s1, 0, v37, s1
	v_add_co_u32 v20, s1, 0x3000, v36
	v_add_co_ci_u32_e64 v21, s1, 0, v37, s1
	v_add_co_u32 v24, s1, 0x3800, v36
	;; [unrolled: 2-line block ×6, first 2 shown]
	v_add_co_ci_u32_e64 v41, s1, 0, v37, s1
	s_clause 0x8
	global_load_dwordx4 v[8:11], v[8:9], off offset:416
	global_load_dwordx4 v[12:15], v[12:13], off offset:768
	;; [unrolled: 1-line block ×9, first 2 shown]
	ds_read_b128 v[44:47], v142 offset:1760
	ds_read_b128 v[48:51], v142 offset:4160
	;; [unrolled: 1-line block ×11, first 2 shown]
	s_waitcnt vmcnt(10) lgkmcnt(10)
	v_mul_f64 v[88:89], v[46:47], v[2:3]
	v_mul_f64 v[2:3], v[44:45], v[2:3]
	s_waitcnt vmcnt(9) lgkmcnt(9)
	v_mul_f64 v[98:99], v[50:51], v[6:7]
	v_mul_f64 v[6:7], v[48:49], v[6:7]
	v_fma_f64 v[44:45], v[44:45], v[0:1], -v[88:89]
	s_waitcnt vmcnt(8) lgkmcnt(8)
	v_mul_f64 v[100:101], v[54:55], v[10:11]
	v_mul_f64 v[10:11], v[52:53], v[10:11]
	s_waitcnt vmcnt(7) lgkmcnt(7)
	v_mul_f64 v[102:103], v[58:59], v[14:15]
	v_mul_f64 v[14:15], v[56:57], v[14:15]
	;; [unrolled: 3-line block ×8, first 2 shown]
	v_fma_f64 v[46:47], v[46:47], v[0:1], v[2:3]
	v_fma_f64 v[0:1], v[48:49], v[4:5], -v[98:99]
	s_waitcnt vmcnt(0) lgkmcnt(0)
	v_mul_f64 v[48:49], v[96:97], v[42:43]
	v_mul_f64 v[42:43], v[94:95], v[42:43]
	v_fma_f64 v[2:3], v[50:51], v[4:5], v[6:7]
	v_fma_f64 v[4:5], v[52:53], v[8:9], -v[100:101]
	v_fma_f64 v[6:7], v[54:55], v[8:9], v[10:11]
	v_fma_f64 v[8:9], v[56:57], v[12:13], -v[102:103]
	v_fma_f64 v[10:11], v[58:59], v[12:13], v[14:15]
	v_fma_f64 v[12:13], v[64:65], v[16:17], -v[104:105]
	v_fma_f64 v[14:15], v[66:67], v[16:17], v[18:19]
	v_fma_f64 v[16:17], v[68:69], v[20:21], -v[106:107]
	v_fma_f64 v[18:19], v[70:71], v[20:21], v[22:23]
	v_fma_f64 v[20:21], v[72:73], v[24:25], -v[108:109]
	v_fma_f64 v[22:23], v[74:75], v[24:25], v[26:27]
	v_fma_f64 v[24:25], v[76:77], v[28:29], -v[110:111]
	v_fma_f64 v[26:27], v[78:79], v[28:29], v[30:31]
	v_fma_f64 v[28:29], v[80:81], v[32:33], -v[88:89]
	v_fma_f64 v[30:31], v[82:83], v[32:33], v[34:35]
	v_fma_f64 v[32:33], v[84:85], v[36:37], -v[112:113]
	v_fma_f64 v[34:35], v[86:87], v[36:37], v[38:39]
	v_fma_f64 v[36:37], v[94:95], v[40:41], -v[48:49]
	v_fma_f64 v[38:39], v[96:97], v[40:41], v[42:43]
	ds_write_b128 v142, v[44:47] offset:1760
	ds_write_b128 v142, v[0:3] offset:4160
	ds_write_b128 v142, v[4:7] offset:6560
	ds_write_b128 v142, v[8:11] offset:8960
	ds_write_b128 v142, v[12:15] offset:11360
	ds_write_b128 v142, v[16:19] offset:13760
	ds_write_b128 v142, v[20:23] offset:16160
	ds_write_b128 v142, v[24:27] offset:18560
	ds_write_b128 v142, v[28:31] offset:20960
	ds_write_b128 v142, v[32:35] offset:23360
	ds_write_b128 v142, v[36:39] offset:25760
.LBB0_13:
	s_or_b32 exec_lo, exec_lo, s4
	s_waitcnt lgkmcnt(0)
	s_waitcnt_vscnt null, 0x0
	s_barrier
	buffer_gl0_inv
	ds_read_b128 v[0:3], v142
	ds_read_b128 v[40:43], v142 offset:2400
	ds_read_b128 v[36:39], v142 offset:4800
	;; [unrolled: 1-line block ×10, first 2 shown]
	s_and_saveexec_b32 s1, vcc_lo
	s_cbranch_execz .LBB0_15
; %bb.14:
	ds_read_b128 v[240:243], v142 offset:1760
	ds_read_b128 v[248:251], v142 offset:4160
	;; [unrolled: 1-line block ×6, first 2 shown]
	s_waitcnt lgkmcnt(0)
	buffer_store_dword v44, off, s[40:43], 0 offset:64 ; 4-byte Folded Spill
	buffer_store_dword v45, off, s[40:43], 0 offset:68 ; 4-byte Folded Spill
	buffer_store_dword v46, off, s[40:43], 0 offset:72 ; 4-byte Folded Spill
	buffer_store_dword v47, off, s[40:43], 0 offset:76 ; 4-byte Folded Spill
	ds_read_b128 v[44:47], v142 offset:16160
	s_waitcnt lgkmcnt(0)
	buffer_store_dword v44, off, s[40:43], 0 offset:80 ; 4-byte Folded Spill
	buffer_store_dword v45, off, s[40:43], 0 offset:84 ; 4-byte Folded Spill
	buffer_store_dword v46, off, s[40:43], 0 offset:88 ; 4-byte Folded Spill
	buffer_store_dword v47, off, s[40:43], 0 offset:92 ; 4-byte Folded Spill
	ds_read_b128 v[44:47], v142 offset:18560
	;; [unrolled: 6-line block ×5, first 2 shown]
	s_waitcnt lgkmcnt(0)
	buffer_store_dword v44, off, s[40:43], 0 ; 4-byte Folded Spill
	buffer_store_dword v45, off, s[40:43], 0 offset:4 ; 4-byte Folded Spill
	buffer_store_dword v46, off, s[40:43], 0 offset:8 ; 4-byte Folded Spill
	;; [unrolled: 1-line block ×3, first 2 shown]
.LBB0_15:
	s_or_b32 exec_lo, exec_lo, s1
	s_waitcnt lgkmcnt(9)
	v_add_f64 v[44:45], v[0:1], v[40:41]
	v_add_f64 v[46:47], v[2:3], v[42:43]
	s_waitcnt lgkmcnt(0)
	v_add_f64 v[50:51], v[42:43], v[6:7]
	v_add_f64 v[54:55], v[42:43], -v[6:7]
	s_mov_b32 s26, 0xf8bb580b
	s_mov_b32 s24, 0x8eee2c13
	s_mov_b32 s22, 0x43842ef
	s_mov_b32 s16, 0xfd768dbf
	s_mov_b32 s27, 0xbfe14ced
	s_mov_b32 s25, 0xbfed1bb4
	s_mov_b32 s23, 0xbfefac9e
	s_mov_b32 s17, 0xbfd207e7
	v_add_f64 v[48:49], v[40:41], v[4:5]
	v_add_f64 v[52:53], v[40:41], -v[4:5]
	v_add_f64 v[40:41], v[36:37], v[8:9]
	v_add_f64 v[130:131], v[38:39], v[10:11]
	s_mov_b32 s4, 0x8764f0ba
	s_mov_b32 s18, 0xd9c712b6
	;; [unrolled: 1-line block ×6, first 2 shown]
	v_add_f64 v[44:45], v[44:45], v[36:37]
	v_add_f64 v[46:47], v[46:47], v[38:39]
	s_mov_b32 s19, 0x3fda9628
	v_mul_f64 v[58:59], v[54:55], s[24:25]
	s_mov_b32 s15, 0xbfc2375f
	s_mov_b32 s13, 0xbfe4f49e
	;; [unrolled: 1-line block ×3, first 2 shown]
	v_mul_f64 v[64:65], v[50:51], s[4:5]
	v_mul_f64 v[66:67], v[50:51], s[14:15]
	;; [unrolled: 1-line block ×3, first 2 shown]
	s_mov_b32 s37, 0x3fed1bb4
	s_mov_b32 s31, 0x3fefac9e
	;; [unrolled: 1-line block ×9, first 2 shown]
	s_clause 0xb
	buffer_load_dword v114, off, s[40:43], 0
	buffer_load_dword v115, off, s[40:43], 0 offset:4
	buffer_load_dword v116, off, s[40:43], 0 offset:8
	;; [unrolled: 1-line block ×11, first 2 shown]
	v_add_f64 v[44:45], v[44:45], v[28:29]
	v_add_f64 v[46:47], v[46:47], v[30:31]
	s_clause 0x3
	buffer_load_dword v60, off, s[40:43], 0 offset:48
	buffer_load_dword v61, off, s[40:43], 0 offset:52
	;; [unrolled: 1-line block ×4, first 2 shown]
	v_fma_f64 v[72:73], v[48:49], s[18:19], v[58:59]
	v_fma_f64 v[58:59], v[48:49], s[18:19], -v[58:59]
	s_clause 0x7
	buffer_load_dword v132, off, s[40:43], 0 offset:64
	buffer_load_dword v133, off, s[40:43], 0 offset:68
	;; [unrolled: 1-line block ×8, first 2 shown]
	s_waitcnt vmcnt(0)
	s_waitcnt_vscnt null, 0x0
	v_fma_f64 v[76:77], v[52:53], s[28:29], v[64:65]
	s_barrier
	v_fma_f64 v[80:81], v[52:53], s[38:39], v[68:69]
	v_fma_f64 v[68:69], v[52:53], s[20:21], v[68:69]
	buffer_gl0_inv
	v_add_f64 v[44:45], v[44:45], v[20:21]
	v_add_f64 v[46:47], v[46:47], v[22:23]
	;; [unrolled: 1-line block ×14, first 2 shown]
	v_add_f64 v[42:43], v[36:37], -v[8:9]
	v_add_f64 v[44:45], v[38:39], -v[10:11]
	v_add_f64 v[36:37], v[28:29], v[32:33]
	v_add_f64 v[38:39], v[30:31], v[34:35]
	v_add_f64 v[32:33], v[28:29], -v[32:33]
	v_add_f64 v[34:35], v[30:31], -v[34:35]
	v_add_f64 v[28:29], v[20:21], v[24:25]
	v_add_f64 v[30:31], v[22:23], v[26:27]
	v_add_f64 v[20:21], v[20:21], -v[24:25]
	v_add_f64 v[22:23], v[22:23], -v[26:27]
	v_add_f64 v[24:25], v[14:15], v[18:19]
	v_add_f64 v[14:15], v[14:15], -v[18:19]
	v_mul_f64 v[18:19], v[54:55], s[26:27]
	v_add_f64 v[26:27], v[12:13], v[16:17]
	v_add_f64 v[12:13], v[12:13], -v[16:17]
	v_mul_f64 v[16:17], v[54:55], s[22:23]
	v_add_f64 v[8:9], v[46:47], v[8:9]
	v_mul_f64 v[46:47], v[54:55], s[20:21]
	v_mul_f64 v[54:55], v[54:55], s[16:17]
	v_add_f64 v[10:11], v[56:57], v[10:11]
	v_mul_f64 v[56:57], v[50:51], s[18:19]
	v_mul_f64 v[50:51], v[50:51], s[6:7]
	;; [unrolled: 1-line block ×4, first 2 shown]
	v_fma_f64 v[70:71], v[48:49], s[4:5], v[18:19]
	v_fma_f64 v[18:19], v[48:49], s[4:5], -v[18:19]
	v_fma_f64 v[74:75], v[48:49], s[14:15], v[16:17]
	v_fma_f64 v[16:17], v[48:49], s[14:15], -v[16:17]
	v_add_f64 v[4:5], v[8:9], v[4:5]
	v_fma_f64 v[8:9], v[48:49], s[12:13], v[46:47]
	v_fma_f64 v[46:47], v[48:49], s[12:13], -v[46:47]
	v_fma_f64 v[78:79], v[48:49], s[6:7], v[54:55]
	v_fma_f64 v[48:49], v[48:49], s[6:7], -v[54:55]
	v_add_f64 v[6:7], v[10:11], v[6:7]
	v_fma_f64 v[10:11], v[52:53], s[26:27], v[64:65]
	v_fma_f64 v[64:65], v[52:53], s[36:37], v[56:57]
	;; [unrolled: 1-line block ×7, first 2 shown]
	v_add_f64 v[52:53], v[0:1], v[70:71]
	v_add_f64 v[18:19], v[0:1], v[18:19]
	v_add_f64 v[70:71], v[2:3], v[76:77]
	v_add_f64 v[86:87], v[0:1], v[74:75]
	v_add_f64 v[16:17], v[0:1], v[16:17]
	v_mul_f64 v[74:75], v[34:35], s[22:23]
	v_mul_f64 v[76:77], v[38:39], s[14:15]
	v_add_f64 v[8:9], v[0:1], v[8:9]
	v_add_f64 v[46:47], v[0:1], v[46:47]
	;; [unrolled: 1-line block ×4, first 2 shown]
	v_mul_f64 v[48:49], v[44:45], s[24:25]
	v_add_f64 v[10:11], v[2:3], v[10:11]
	v_add_f64 v[64:65], v[2:3], v[64:65]
	;; [unrolled: 1-line block ×7, first 2 shown]
	v_mul_f64 v[78:79], v[22:23], s[20:21]
	v_mul_f64 v[82:83], v[14:15], s[16:17]
	v_fma_f64 v[50:51], v[40:41], s[18:19], v[48:49]
	v_fma_f64 v[48:49], v[40:41], s[18:19], -v[48:49]
	v_add_f64 v[50:51], v[50:51], v[52:53]
	v_mul_f64 v[52:53], v[130:131], s[18:19]
	v_add_f64 v[18:19], v[48:49], v[18:19]
	v_fma_f64 v[72:73], v[42:43], s[36:37], v[52:53]
	v_fma_f64 v[48:49], v[42:43], s[24:25], v[52:53]
	v_mul_f64 v[52:53], v[34:35], s[34:35]
	v_add_f64 v[70:71], v[72:73], v[70:71]
	v_fma_f64 v[72:73], v[36:37], s[14:15], v[74:75]
	v_add_f64 v[10:11], v[48:49], v[10:11]
	v_fma_f64 v[48:49], v[36:37], s[14:15], -v[74:75]
	v_add_f64 v[50:51], v[72:73], v[50:51]
	v_fma_f64 v[72:73], v[32:33], s[30:31], v[76:77]
	v_add_f64 v[18:19], v[48:49], v[18:19]
	v_fma_f64 v[48:49], v[32:33], s[22:23], v[76:77]
	;; [unrolled: 2-line block ×3, first 2 shown]
	v_add_f64 v[10:11], v[48:49], v[10:11]
	v_fma_f64 v[48:49], v[28:29], s[12:13], -v[78:79]
	v_add_f64 v[50:51], v[72:73], v[50:51]
	v_fma_f64 v[72:73], v[20:21], s[38:39], v[80:81]
	v_add_f64 v[18:19], v[48:49], v[18:19]
	v_fma_f64 v[48:49], v[20:21], s[20:21], v[80:81]
	;; [unrolled: 2-line block ×3, first 2 shown]
	v_add_f64 v[10:11], v[48:49], v[10:11]
	v_fma_f64 v[48:49], v[26:27], s[6:7], -v[82:83]
	v_mul_f64 v[82:83], v[22:23], s[30:31]
	v_add_f64 v[70:71], v[70:71], v[50:51]
	v_mul_f64 v[50:51], v[24:25], s[6:7]
	v_add_f64 v[74:75], v[48:49], v[18:19]
	v_mul_f64 v[48:49], v[130:131], s[12:13]
	v_fma_f64 v[88:89], v[12:13], s[34:35], v[50:51]
	v_fma_f64 v[50:51], v[12:13], s[16:17], v[50:51]
	v_add_f64 v[72:73], v[88:89], v[72:73]
	v_add_f64 v[76:77], v[50:51], v[10:11]
	v_mul_f64 v[10:11], v[44:45], s[20:21]
	v_fma_f64 v[50:51], v[42:43], s[38:39], v[48:49]
	v_mul_f64 v[88:89], v[14:15], s[28:29]
	v_fma_f64 v[48:49], v[42:43], s[20:21], v[48:49]
	v_fma_f64 v[18:19], v[40:41], s[12:13], v[10:11]
	v_add_f64 v[50:51], v[50:51], v[64:65]
	v_fma_f64 v[64:65], v[36:37], s[6:7], v[52:53]
	v_fma_f64 v[10:11], v[40:41], s[12:13], -v[10:11]
	v_add_f64 v[48:49], v[48:49], v[56:57]
	v_add_f64 v[18:19], v[18:19], v[84:85]
	v_mul_f64 v[84:85], v[30:31], s[14:15]
	v_add_f64 v[10:11], v[10:11], v[58:59]
	v_add_f64 v[18:19], v[64:65], v[18:19]
	v_mul_f64 v[64:65], v[38:39], s[6:7]
	v_fma_f64 v[78:79], v[32:33], s[16:17], v[64:65]
	v_add_f64 v[50:51], v[78:79], v[50:51]
	v_fma_f64 v[78:79], v[28:29], s[14:15], v[82:83]
	v_add_f64 v[18:19], v[78:79], v[18:19]
	;; [unrolled: 2-line block ×4, first 2 shown]
	v_mul_f64 v[18:19], v[24:25], s[4:5]
	v_fma_f64 v[80:81], v[12:13], s[26:27], v[18:19]
	v_fma_f64 v[18:19], v[12:13], s[28:29], v[18:19]
	v_add_f64 v[80:81], v[80:81], v[50:51]
	v_fma_f64 v[50:51], v[36:37], s[6:7], -v[52:53]
	v_mul_f64 v[52:53], v[34:35], s[36:37]
	v_add_f64 v[10:11], v[50:51], v[10:11]
	v_fma_f64 v[50:51], v[32:33], s[34:35], v[64:65]
	v_add_f64 v[48:49], v[50:51], v[48:49]
	v_fma_f64 v[50:51], v[28:29], s[14:15], -v[82:83]
	v_add_f64 v[10:11], v[50:51], v[10:11]
	v_fma_f64 v[50:51], v[20:21], s[30:31], v[84:85]
	v_add_f64 v[48:49], v[50:51], v[48:49]
	v_fma_f64 v[50:51], v[26:27], s[4:5], -v[88:89]
	v_add_f64 v[84:85], v[18:19], v[48:49]
	v_add_f64 v[82:83], v[50:51], v[10:11]
	v_mul_f64 v[10:11], v[44:45], s[34:35]
	v_mul_f64 v[48:49], v[130:131], s[6:7]
	v_fma_f64 v[18:19], v[40:41], s[6:7], v[10:11]
	v_fma_f64 v[50:51], v[42:43], s[16:17], v[48:49]
	v_fma_f64 v[10:11], v[40:41], s[6:7], -v[10:11]
	v_add_f64 v[18:19], v[18:19], v[86:87]
	v_add_f64 v[50:51], v[50:51], v[54:55]
	v_fma_f64 v[54:55], v[36:37], s[18:19], v[52:53]
	v_add_f64 v[10:11], v[10:11], v[16:17]
	v_fma_f64 v[16:17], v[42:43], s[34:35], v[48:49]
	v_fma_f64 v[48:49], v[36:37], s[18:19], -v[52:53]
	v_add_f64 v[18:19], v[54:55], v[18:19]
	v_mul_f64 v[54:55], v[38:39], s[18:19]
	v_add_f64 v[16:17], v[16:17], v[66:67]
	v_add_f64 v[10:11], v[48:49], v[10:11]
	;; [unrolled: 1-line block ×3, first 2 shown]
	v_fma_f64 v[56:57], v[32:33], s[24:25], v[54:55]
	v_fma_f64 v[48:49], v[32:33], s[36:37], v[54:55]
	v_mul_f64 v[54:55], v[22:23], s[16:17]
	v_add_f64 v[50:51], v[56:57], v[50:51]
	v_mul_f64 v[56:57], v[22:23], s[26:27]
	v_add_f64 v[16:17], v[48:49], v[16:17]
	v_mul_f64 v[22:23], v[22:23], s[36:37]
	v_fma_f64 v[58:59], v[28:29], s[4:5], v[56:57]
	v_fma_f64 v[48:49], v[28:29], s[4:5], -v[56:57]
	v_mul_f64 v[56:57], v[30:31], s[6:7]
	v_add_f64 v[18:19], v[58:59], v[18:19]
	v_mul_f64 v[58:59], v[30:31], s[4:5]
	v_add_f64 v[10:11], v[48:49], v[10:11]
	v_mul_f64 v[30:31], v[30:31], s[18:19]
	v_fma_f64 v[64:65], v[20:21], s[28:29], v[58:59]
	v_fma_f64 v[48:49], v[20:21], s[26:27], v[58:59]
	v_add_f64 v[50:51], v[64:65], v[50:51]
	v_mul_f64 v[64:65], v[14:15], s[20:21]
	v_add_f64 v[16:17], v[48:49], v[16:17]
	v_mul_f64 v[14:15], v[14:15], s[22:23]
	v_fma_f64 v[86:87], v[26:27], s[12:13], v[64:65]
	v_fma_f64 v[48:49], v[26:27], s[12:13], -v[64:65]
	v_add_f64 v[86:87], v[86:87], v[18:19]
	v_mul_f64 v[18:19], v[24:25], s[12:13]
	v_add_f64 v[94:95], v[48:49], v[10:11]
	v_mul_f64 v[10:11], v[44:45], s[30:31]
	v_mul_f64 v[48:49], v[34:35], s[26:27]
	;; [unrolled: 1-line block ×3, first 2 shown]
	v_fma_f64 v[88:89], v[12:13], s[38:39], v[18:19]
	v_fma_f64 v[18:19], v[12:13], s[20:21], v[18:19]
	v_fma_f64 v[64:65], v[36:37], s[12:13], v[34:35]
	v_fma_f64 v[34:35], v[36:37], s[12:13], -v[34:35]
	v_add_f64 v[88:89], v[88:89], v[50:51]
	v_add_f64 v[96:97], v[18:19], v[16:17]
	v_fma_f64 v[16:17], v[40:41], s[14:15], v[10:11]
	v_fma_f64 v[50:51], v[36:37], s[4:5], v[48:49]
	v_fma_f64 v[10:11], v[40:41], s[14:15], -v[10:11]
	v_add_f64 v[8:9], v[16:17], v[8:9]
	v_mul_f64 v[16:17], v[130:131], s[14:15]
	v_add_f64 v[10:11], v[10:11], v[46:47]
	v_add_f64 v[46:47], v[250:251], -v[116:117]
	v_add_f64 v[8:9], v[50:51], v[8:9]
	v_fma_f64 v[18:19], v[42:43], s[22:23], v[16:17]
	v_mul_f64 v[50:51], v[38:39], s[4:5]
	v_mul_f64 v[38:39], v[38:39], s[12:13]
	v_fma_f64 v[16:17], v[42:43], s[30:31], v[16:17]
	v_add_f64 v[18:19], v[18:19], v[98:99]
	v_fma_f64 v[52:53], v[32:33], s[28:29], v[50:51]
	v_add_f64 v[16:17], v[16:17], v[68:69]
	v_add_f64 v[18:19], v[52:53], v[18:19]
	v_fma_f64 v[52:53], v[28:29], s[6:7], v[54:55]
	v_add_f64 v[8:9], v[52:53], v[8:9]
	v_fma_f64 v[52:53], v[20:21], s[34:35], v[56:57]
	v_add_f64 v[18:19], v[52:53], v[18:19]
	v_fma_f64 v[52:53], v[26:27], s[18:19], v[106:107]
	v_add_f64 v[98:99], v[52:53], v[8:9]
	v_mul_f64 v[8:9], v[24:25], s[18:19]
	v_mul_f64 v[24:25], v[24:25], s[14:15]
	v_fma_f64 v[52:53], v[12:13], s[24:25], v[8:9]
	v_fma_f64 v[8:9], v[12:13], s[36:37], v[8:9]
	v_add_f64 v[100:101], v[52:53], v[18:19]
	v_mul_f64 v[18:19], v[44:45], s[28:29]
	v_mul_f64 v[52:53], v[130:131], s[4:5]
	v_fma_f64 v[44:45], v[40:41], s[4:5], v[18:19]
	v_fma_f64 v[58:59], v[42:43], s[26:27], v[52:53]
	v_fma_f64 v[18:19], v[40:41], s[4:5], -v[18:19]
	v_fma_f64 v[40:41], v[42:43], s[28:29], v[52:53]
	v_fma_f64 v[42:43], v[28:29], s[18:19], v[22:23]
	v_fma_f64 v[22:23], v[28:29], s[18:19], -v[22:23]
	v_add_f64 v[52:53], v[248:249], v[114:115]
	v_add_f64 v[44:45], v[44:45], v[102:103]
	;; [unrolled: 1-line block ×5, first 2 shown]
	v_fma_f64 v[18:19], v[36:37], s[4:5], -v[48:49]
	v_fma_f64 v[36:37], v[32:33], s[20:21], v[38:39]
	v_add_f64 v[40:41], v[244:245], -v[118:119]
	v_add_f64 v[44:45], v[64:65], v[44:45]
	v_fma_f64 v[64:65], v[32:33], s[38:39], v[38:39]
	v_fma_f64 v[32:33], v[32:33], s[26:27], v[50:51]
	;; [unrolled: 1-line block ×3, first 2 shown]
	v_add_f64 v[0:1], v[34:35], v[0:1]
	v_add_f64 v[2:3], v[36:37], v[2:3]
	v_fma_f64 v[30:31], v[20:21], s[36:37], v[30:31]
	v_add_f64 v[10:11], v[18:19], v[10:11]
	v_fma_f64 v[20:21], v[20:21], s[16:17], v[56:57]
	v_fma_f64 v[34:35], v[26:27], s[14:15], v[14:15]
	;; [unrolled: 1-line block ×3, first 2 shown]
	v_fma_f64 v[14:15], v[26:27], s[14:15], -v[14:15]
	v_mul_f64 v[48:49], v[40:41], s[34:35]
	v_add_f64 v[42:43], v[42:43], v[44:45]
	v_add_f64 v[58:59], v[64:65], v[58:59]
	v_add_f64 v[16:17], v[32:33], v[16:17]
	v_fma_f64 v[32:33], v[28:29], s[6:7], -v[54:55]
	v_add_f64 v[0:1], v[22:23], v[0:1]
	v_fma_f64 v[22:23], v[12:13], s[22:23], v[24:25]
	v_add_f64 v[2:3], v[30:31], v[2:3]
	v_add_f64 v[28:29], v[246:247], -v[120:121]
	v_mul_f64 v[64:65], v[46:47], s[22:23]
	v_add_f64 v[24:25], v[244:245], v[118:119]
	v_add_f64 v[30:31], v[254:255], v[124:125]
	;; [unrolled: 1-line block ×6, first 2 shown]
	v_fma_f64 v[20:21], v[26:27], s[18:19], -v[106:107]
	v_add_f64 v[106:107], v[14:15], v[0:1]
	v_add_f64 v[108:109], v[22:23], v[2:3]
	v_add_f64 v[58:59], v[248:249], -v[114:115]
	v_mul_f64 v[44:45], v[28:29], s[34:35]
	v_add_f64 v[32:33], v[246:247], v[120:121]
	v_add_f64 v[22:23], v[252:253], v[122:123]
	v_add_f64 v[42:43], v[252:253], -v[122:123]
	v_add_f64 v[34:35], v[166:167], -v[62:63]
	;; [unrolled: 1-line block ×3, first 2 shown]
	v_add_f64 v[14:15], v[166:167], v[62:63]
	v_add_f64 v[26:27], v[132:133], -v[136:137]
	v_add_f64 v[104:105], v[18:19], v[36:37]
	v_add_f64 v[112:113], v[8:9], v[16:17]
	v_fma_f64 v[18:19], v[52:53], s[14:15], v[64:65]
	v_add_f64 v[110:111], v[20:21], v[10:11]
	ds_write_b128 v143, v[4:7]
	ds_write_b128 v143, v[70:73] offset:16
	ds_write_b128 v143, v[78:81] offset:32
	ds_write_b128 v143, v[86:89] offset:48
	ds_write_b128 v143, v[98:101] offset:64
	ds_write_b128 v143, v[102:105] offset:80
	ds_write_b128 v143, v[106:109] offset:96
	ds_write_b128 v143, v[110:113] offset:112
	v_mul_f64 v[86:87], v[46:47], s[20:21]
	v_mul_f64 v[68:69], v[58:59], s[22:23]
	;; [unrolled: 1-line block ×4, first 2 shown]
	v_add_f64 v[36:37], v[254:255], -v[124:125]
	v_mul_f64 v[78:79], v[40:41], s[30:31]
	v_add_f64 v[2:3], v[240:241], v[18:19]
	v_fma_f64 v[12:13], v[24:25], s[6:7], v[44:45]
	v_fma_f64 v[8:9], v[32:33], s[6:7], -v[48:49]
	ds_write_b128 v143, v[94:97] offset:128
	ds_write_b128 v143, v[82:85] offset:144
	ds_write_b128 v143, v[74:77] offset:160
	v_mul_f64 v[54:55], v[42:43], s[36:37]
	v_mul_f64 v[84:85], v[42:43], s[26:27]
	;; [unrolled: 1-line block ×6, first 2 shown]
	v_add_f64 v[20:21], v[134:135], -v[138:139]
	v_add_f64 v[10:11], v[134:135], v[138:139]
	v_mul_f64 v[18:19], v[26:27], s[20:21]
	v_fma_f64 v[4:5], v[52:53], s[12:13], v[86:87]
	v_fma_f64 v[0:1], v[66:67], s[14:15], -v[68:69]
	v_fma_f64 v[6:7], v[24:25], s[14:15], v[70:71]
	v_fma_f64 v[72:73], v[66:67], s[12:13], -v[88:89]
	v_mul_f64 v[50:51], v[36:37], s[36:37]
	v_mul_f64 v[76:77], v[36:37], s[26:27]
	v_add_f64 v[2:3], v[12:13], v[2:3]
	v_add_f64 v[12:13], v[164:165], v[60:61]
	v_mul_f64 v[16:17], v[20:21], s[20:21]
	v_add_f64 v[4:5], v[240:241], v[4:5]
	v_add_f64 v[0:1], v[242:243], v[0:1]
	;; [unrolled: 1-line block ×4, first 2 shown]
	v_fma_f64 v[72:73], v[32:33], s[14:15], -v[78:79]
	v_add_f64 v[0:1], v[8:9], v[0:1]
	v_fma_f64 v[8:9], v[22:23], s[18:19], v[50:51]
	v_add_f64 v[6:7], v[72:73], v[6:7]
	v_fma_f64 v[72:73], v[22:23], s[4:5], v[76:77]
	v_add_f64 v[2:3], v[8:9], v[2:3]
	v_fma_f64 v[8:9], v[30:31], s[18:19], -v[54:55]
	v_add_f64 v[4:5], v[72:73], v[4:5]
	v_fma_f64 v[72:73], v[30:31], s[4:5], -v[84:85]
	v_add_f64 v[0:1], v[8:9], v[0:1]
	v_fma_f64 v[8:9], v[12:13], s[4:5], v[130:131]
	v_add_f64 v[6:7], v[72:73], v[6:7]
	v_fma_f64 v[72:73], v[12:13], s[6:7], v[74:75]
	v_add_f64 v[2:3], v[8:9], v[2:3]
	v_fma_f64 v[8:9], v[14:15], s[4:5], -v[56:57]
	v_add_f64 v[4:5], v[72:73], v[4:5]
	v_fma_f64 v[72:73], v[14:15], s[6:7], -v[82:83]
	v_add_f64 v[140:141], v[8:9], v[0:1]
	v_add_f64 v[8:9], v[132:133], v[136:137]
	;; [unrolled: 1-line block ×3, first 2 shown]
	v_mul_f64 v[72:73], v[20:21], s[36:37]
	v_fma_f64 v[0:1], v[8:9], s[12:13], v[16:17]
	v_fma_f64 v[80:81], v[8:9], s[18:19], v[72:73]
	v_add_f64 v[0:1], v[0:1], v[2:3]
	v_fma_f64 v[2:3], v[10:11], s[12:13], -v[18:19]
	v_add_f64 v[4:5], v[80:81], v[4:5]
	v_mul_f64 v[80:81], v[26:27], s[36:37]
	v_add_f64 v[2:3], v[2:3], v[140:141]
	v_fma_f64 v[94:95], v[10:11], s[18:19], -v[80:81]
	v_add_f64 v[6:7], v[94:95], v[6:7]
	s_and_saveexec_b32 s1, vcc_lo
	s_cbranch_execz .LBB0_17
; %bb.16:
	v_mul_f64 v[98:99], v[66:67], s[12:13]
	v_mul_f64 v[100:101], v[52:53], s[12:13]
	;; [unrolled: 1-line block ×4, first 2 shown]
	v_add_f64 v[96:97], v[240:241], v[248:249]
	v_add_f64 v[94:95], v[242:243], v[250:251]
	;; [unrolled: 1-line block ×3, first 2 shown]
	v_mul_f64 v[98:99], v[52:53], s[14:15]
	v_add_f64 v[86:87], v[100:101], -v[86:87]
	v_mul_f64 v[100:101], v[58:59], s[16:17]
	v_add_f64 v[68:69], v[68:69], v[102:103]
	v_mul_f64 v[102:103], v[58:59], s[24:25]
	v_mul_f64 v[58:59], v[58:59], s[26:27]
	v_fma_f64 v[112:113], v[52:53], s[18:19], v[108:109]
	v_fma_f64 v[108:109], v[52:53], s[18:19], -v[108:109]
	v_add_f64 v[96:97], v[96:97], v[244:245]
	v_add_f64 v[94:95], v[94:95], v[246:247]
	;; [unrolled: 1-line block ×3, first 2 shown]
	v_add_f64 v[64:65], v[98:99], -v[64:65]
	v_add_f64 v[86:87], v[240:241], v[86:87]
	v_fma_f64 v[98:99], v[66:67], s[6:7], v[100:101]
	v_fma_f64 v[100:101], v[66:67], s[6:7], -v[100:101]
	v_fma_f64 v[104:105], v[66:67], s[18:19], -v[102:103]
	v_fma_f64 v[102:103], v[66:67], s[18:19], v[102:103]
	v_fma_f64 v[106:107], v[66:67], s[4:5], -v[58:59]
	v_fma_f64 v[58:59], v[66:67], s[4:5], v[58:59]
	v_mul_f64 v[66:67], v[46:47], s[16:17]
	v_mul_f64 v[46:47], v[46:47], s[26:27]
	v_add_f64 v[96:97], v[96:97], v[252:253]
	v_add_f64 v[94:95], v[94:95], v[254:255]
	v_add_f64 v[68:69], v[242:243], v[68:69]
	v_add_f64 v[112:113], v[240:241], v[112:113]
	v_add_f64 v[108:109], v[240:241], v[108:109]
	v_add_f64 v[64:65], v[240:241], v[64:65]
	v_add_f64 v[100:101], v[242:243], v[100:101]
	v_add_f64 v[104:105], v[242:243], v[104:105]
	v_add_f64 v[102:103], v[242:243], v[102:103]
	v_add_f64 v[106:107], v[242:243], v[106:107]
	v_add_f64 v[58:59], v[242:243], v[58:59]
	v_fma_f64 v[110:111], v[52:53], s[6:7], -v[66:67]
	v_fma_f64 v[140:141], v[52:53], s[4:5], v[46:47]
	v_fma_f64 v[66:67], v[52:53], s[6:7], v[66:67]
	v_fma_f64 v[46:47], v[52:53], s[4:5], -v[46:47]
	v_add_f64 v[52:53], v[242:243], v[98:99]
	v_add_f64 v[96:97], v[96:97], v[164:165]
	;; [unrolled: 1-line block ×5, first 2 shown]
	v_mul_f64 v[140:141], v[32:33], s[14:15]
	v_add_f64 v[66:67], v[240:241], v[66:67]
	v_add_f64 v[46:47], v[240:241], v[46:47]
	v_add_f64 v[96:97], v[96:97], v[132:133]
	v_add_f64 v[94:95], v[94:95], v[134:135]
	v_add_f64 v[78:79], v[78:79], v[140:141]
	v_mul_f64 v[140:141], v[24:25], s[14:15]
	v_add_f64 v[96:97], v[96:97], v[136:137]
	v_add_f64 v[94:95], v[94:95], v[138:139]
	;; [unrolled: 1-line block ×3, first 2 shown]
	v_add_f64 v[70:71], v[140:141], -v[70:71]
	v_mul_f64 v[140:141], v[30:31], s[4:5]
	v_mul_f64 v[88:89], v[36:37], s[20:21]
	v_add_f64 v[94:95], v[94:95], v[62:63]
	v_add_f64 v[96:97], v[96:97], v[60:61]
	;; [unrolled: 1-line block ×4, first 2 shown]
	v_mul_f64 v[140:141], v[22:23], s[4:5]
	v_add_f64 v[94:95], v[94:95], v[124:125]
	v_add_f64 v[96:97], v[96:97], v[122:123]
	;; [unrolled: 1-line block ×3, first 2 shown]
	v_add_f64 v[76:77], v[140:141], -v[76:77]
	v_mul_f64 v[140:141], v[32:33], s[6:7]
	v_add_f64 v[70:71], v[76:77], v[70:71]
	v_add_f64 v[48:49], v[48:49], v[140:141]
	v_mul_f64 v[140:141], v[24:25], s[6:7]
	v_add_f64 v[48:49], v[48:49], v[68:69]
	v_add_f64 v[44:45], v[140:141], -v[44:45]
	v_mul_f64 v[140:141], v[14:15], s[6:7]
	v_fma_f64 v[68:69], v[22:23], s[12:13], -v[88:89]
	v_fma_f64 v[88:89], v[22:23], s[12:13], v[88:89]
	v_add_f64 v[44:45], v[44:45], v[64:65]
	v_add_f64 v[82:83], v[82:83], v[140:141]
	v_mul_f64 v[140:141], v[12:13], s[6:7]
	v_mul_f64 v[64:65], v[38:39], s[36:37]
	v_add_f64 v[78:79], v[82:83], v[78:79]
	v_add_f64 v[74:75], v[140:141], -v[74:75]
	v_mul_f64 v[140:141], v[30:31], s[18:19]
	v_fma_f64 v[84:85], v[14:15], s[18:19], v[64:65]
	v_fma_f64 v[64:65], v[14:15], s[18:19], -v[64:65]
	v_mul_f64 v[82:83], v[20:21], s[22:23]
	v_add_f64 v[70:71], v[74:75], v[70:71]
	v_add_f64 v[54:55], v[54:55], v[140:141]
	v_mul_f64 v[140:141], v[22:23], s[18:19]
	v_add_f64 v[48:49], v[54:55], v[48:49]
	v_add_f64 v[50:51], v[140:141], -v[50:51]
	v_mul_f64 v[140:141], v[10:11], s[18:19]
	v_add_f64 v[80:81], v[80:81], v[140:141]
	v_mul_f64 v[140:141], v[8:9], s[18:19]
	v_add_f64 v[72:73], v[140:141], -v[72:73]
	v_mul_f64 v[140:141], v[14:15], s[4:5]
	v_add_f64 v[56:57], v[56:57], v[140:141]
	v_mul_f64 v[140:141], v[40:41], s[28:29]
	v_fma_f64 v[164:165], v[32:33], s[4:5], v[140:141]
	v_fma_f64 v[140:141], v[32:33], s[4:5], -v[140:141]
	v_add_f64 v[52:53], v[164:165], v[52:53]
	v_mul_f64 v[164:165], v[28:29], s[28:29]
	v_add_f64 v[100:101], v[140:141], v[100:101]
	v_fma_f64 v[140:141], v[24:25], s[4:5], v[164:165]
	v_fma_f64 v[166:167], v[24:25], s[4:5], -v[164:165]
	v_add_f64 v[66:67], v[140:141], v[66:67]
	v_mul_f64 v[140:141], v[42:43], s[20:21]
	v_add_f64 v[98:99], v[166:167], v[98:99]
	v_add_f64 v[66:67], v[88:89], v[66:67]
	v_fma_f64 v[86:87], v[30:31], s[12:13], v[140:141]
	v_fma_f64 v[140:141], v[30:31], s[12:13], -v[140:141]
	v_mul_f64 v[88:89], v[28:29], s[24:25]
	v_add_f64 v[68:69], v[68:69], v[98:99]
	v_mul_f64 v[98:99], v[12:13], s[4:5]
	v_mul_f64 v[28:29], v[28:29], s[20:21]
	v_add_f64 v[52:53], v[86:87], v[52:53]
	v_mul_f64 v[86:87], v[34:35], s[36:37]
	v_add_f64 v[100:101], v[140:141], v[100:101]
	v_mul_f64 v[140:141], v[40:41], s[20:21]
	v_mul_f64 v[40:41], v[40:41], s[24:25]
	v_add_f64 v[98:99], v[98:99], -v[130:131]
	v_add_f64 v[52:53], v[84:85], v[52:53]
	v_fma_f64 v[76:77], v[12:13], s[18:19], -v[86:87]
	v_fma_f64 v[86:87], v[12:13], s[18:19], v[86:87]
	v_fma_f64 v[84:85], v[24:25], s[18:19], v[88:89]
	v_fma_f64 v[54:55], v[32:33], s[18:19], -v[40:41]
	v_add_f64 v[64:65], v[64:65], v[100:101]
	v_mul_f64 v[100:101], v[42:43], s[34:35]
	v_mul_f64 v[42:43], v[42:43], s[22:23]
	v_fma_f64 v[130:131], v[32:33], s[12:13], -v[140:141]
	v_fma_f64 v[140:141], v[32:33], s[12:13], v[140:141]
	v_fma_f64 v[32:33], v[32:33], s[18:19], v[40:41]
	v_add_f64 v[40:41], v[50:51], v[44:45]
	v_mul_f64 v[44:45], v[8:9], s[12:13]
	v_mul_f64 v[50:51], v[26:27], s[22:23]
	v_add_f64 v[68:69], v[76:77], v[68:69]
	v_fma_f64 v[76:77], v[24:25], s[12:13], v[28:29]
	v_fma_f64 v[28:29], v[24:25], s[12:13], -v[28:29]
	v_add_f64 v[66:67], v[86:87], v[66:67]
	v_mul_f64 v[86:87], v[36:37], s[22:23]
	v_mul_f64 v[36:37], v[36:37], s[34:35]
	v_fma_f64 v[24:25], v[24:25], s[18:19], -v[88:89]
	v_add_f64 v[54:55], v[54:55], v[106:107]
	v_mul_f64 v[88:89], v[38:39], s[30:31]
	v_add_f64 v[84:85], v[84:85], v[110:111]
	v_mul_f64 v[38:39], v[38:39], s[20:21]
	v_fma_f64 v[110:111], v[30:31], s[14:15], -v[42:43]
	v_add_f64 v[74:75], v[130:131], v[104:105]
	v_mul_f64 v[104:105], v[34:35], s[30:31]
	v_fma_f64 v[106:107], v[30:31], s[6:7], -v[100:101]
	v_mul_f64 v[34:35], v[34:35], s[20:21]
	v_add_f64 v[102:103], v[140:141], v[102:103]
	v_fma_f64 v[100:101], v[30:31], s[6:7], v[100:101]
	v_fma_f64 v[30:31], v[30:31], s[14:15], v[42:43]
	v_add_f64 v[32:33], v[32:33], v[58:59]
	v_mul_f64 v[58:59], v[10:11], s[12:13]
	v_mul_f64 v[130:131], v[20:21], s[28:29]
	v_mul_f64 v[20:21], v[20:21], s[16:17]
	v_add_f64 v[76:77], v[76:77], v[112:113]
	v_add_f64 v[28:29], v[28:29], v[108:109]
	v_mul_f64 v[112:113], v[26:27], s[28:29]
	v_fma_f64 v[108:109], v[22:23], s[14:15], v[86:87]
	v_fma_f64 v[42:43], v[22:23], s[6:7], v[36:37]
	v_fma_f64 v[36:37], v[22:23], s[6:7], -v[36:37]
	v_fma_f64 v[22:23], v[22:23], s[14:15], -v[86:87]
	v_add_f64 v[24:25], v[24:25], v[46:47]
	v_mul_f64 v[26:27], v[26:27], s[16:17]
	v_fma_f64 v[86:87], v[10:11], s[14:15], v[50:51]
	v_add_f64 v[54:55], v[110:111], v[54:55]
	v_fma_f64 v[110:111], v[14:15], s[12:13], -v[38:39]
	v_fma_f64 v[46:47], v[8:9], s[14:15], -v[82:83]
	v_add_f64 v[74:75], v[106:107], v[74:75]
	v_fma_f64 v[106:107], v[14:15], s[14:15], -v[88:89]
	v_fma_f64 v[88:89], v[14:15], s[14:15], v[88:89]
	v_add_f64 v[100:101], v[100:101], v[102:103]
	v_fma_f64 v[102:103], v[12:13], s[14:15], -v[104:105]
	v_fma_f64 v[14:15], v[14:15], s[12:13], v[38:39]
	v_add_f64 v[30:31], v[30:31], v[32:33]
	v_add_f64 v[32:33], v[18:19], v[58:59]
	;; [unrolled: 1-line block ×3, first 2 shown]
	v_fma_f64 v[40:41], v[8:9], s[4:5], v[130:131]
	v_fma_f64 v[50:51], v[10:11], s[14:15], -v[50:51]
	v_fma_f64 v[82:83], v[8:9], s[14:15], v[82:83]
	v_add_f64 v[84:85], v[108:109], v[84:85]
	v_fma_f64 v[108:109], v[12:13], s[12:13], v[34:35]
	v_add_f64 v[42:43], v[42:43], v[76:77]
	;; [unrolled: 2-line block ×3, first 2 shown]
	v_fma_f64 v[12:13], v[12:13], s[12:13], -v[34:35]
	v_add_f64 v[22:23], v[22:23], v[24:25]
	v_add_f64 v[36:37], v[44:45], -v[16:17]
	v_fma_f64 v[24:25], v[10:11], s[6:7], -v[26:27]
	v_add_f64 v[44:45], v[110:111], v[54:55]
	v_add_f64 v[34:35], v[56:57], v[48:49]
	;; [unrolled: 1-line block ×4, first 2 shown]
	v_fma_f64 v[48:49], v[8:9], s[6:7], v[20:21]
	v_fma_f64 v[16:17], v[10:11], s[4:5], -v[112:113]
	v_add_f64 v[18:19], v[106:107], v[74:75]
	v_fma_f64 v[74:75], v[10:11], s[4:5], v[112:113]
	v_fma_f64 v[94:95], v[10:11], s[6:7], v[26:27]
	v_add_f64 v[96:97], v[14:15], v[30:31]
	v_fma_f64 v[98:99], v[8:9], s[6:7], -v[20:21]
	v_add_f64 v[14:15], v[50:51], v[64:65]
	v_add_f64 v[10:11], v[86:87], v[52:53]
	;; [unrolled: 1-line block ×4, first 2 shown]
	v_fma_f64 v[84:85], v[8:9], s[4:5], -v[130:131]
	v_add_f64 v[42:43], v[76:77], v[42:43]
	v_add_f64 v[76:77], v[88:89], v[100:101]
	v_add_f64 v[88:89], v[102:103], v[28:29]
	v_add_f64 v[100:101], v[12:13], v[22:23]
	v_add_f64 v[12:13], v[82:83], v[66:67]
	v_add_f64 v[8:9], v[46:47], v[68:69]
	v_add_f64 v[22:23], v[24:25], v[44:45]
	buffer_load_dword v44, off, s[40:43], 0 offset:676 ; 4-byte Folded Reload
	v_add_f64 v[26:27], v[54:55], v[116:117]
	v_add_f64 v[24:25], v[56:57], v[114:115]
	v_add_f64 v[28:29], v[72:73], v[70:71]
	v_add_f64 v[34:35], v[32:33], v[34:35]
	v_add_f64 v[18:19], v[16:17], v[18:19]
	v_add_f64 v[32:33], v[36:37], v[38:39]
	v_add_f64 v[20:21], v[48:49], v[58:59]
	v_add_f64 v[16:17], v[40:41], v[42:43]
	v_add_f64 v[38:39], v[74:75], v[76:77]
	v_add_f64 v[36:37], v[84:85], v[88:89]
	v_add_f64 v[42:43], v[94:95], v[96:97]
	v_add_f64 v[40:41], v[98:99], v[100:101]
	s_waitcnt vmcnt(0)
	v_lshlrev_b32_e32 v44, 4, v44
	ds_write_b128 v44, v[24:27]
	ds_write_b128 v44, v[20:23] offset:16
	ds_write_b128 v44, v[16:19] offset:32
	;; [unrolled: 1-line block ×10, first 2 shown]
.LBB0_17:
	s_or_b32 exec_lo, exec_lo, s1
	s_waitcnt lgkmcnt(0)
	s_barrier
	buffer_gl0_inv
	ds_read_b128 v[12:15], v142
	ds_read_b128 v[16:19], v142 offset:1760
	ds_read_b128 v[36:39], v142 offset:14960
	ds_read_b128 v[40:43], v142 offset:16720
	ds_read_b128 v[24:27], v142 offset:3520
	ds_read_b128 v[20:23], v142 offset:5280
	ds_read_b128 v[44:47], v142 offset:18480
	ds_read_b128 v[48:51], v142 offset:20240
	ds_read_b128 v[32:35], v142 offset:7040
	ds_read_b128 v[28:31], v142 offset:8800
	ds_read_b128 v[64:67], v142 offset:13200
	ds_read_b128 v[8:11], v142 offset:10560
	ds_read_b128 v[56:59], v142 offset:22000
	ds_read_b128 v[52:55], v142 offset:23760
	s_and_saveexec_b32 s1, s0
	s_cbranch_execz .LBB0_19
; %bb.18:
	ds_read_b128 v[0:3], v142 offset:12320
	ds_read_b128 v[4:7], v142 offset:25520
.LBB0_19:
	s_or_b32 exec_lo, exec_lo, s1
	s_clause 0x3
	buffer_load_dword v104, off, s[40:43], 0 offset:380
	buffer_load_dword v105, off, s[40:43], 0 offset:384
	;; [unrolled: 1-line block ×4, first 2 shown]
	s_waitcnt vmcnt(0) lgkmcnt(3)
	v_mul_f64 v[68:69], v[106:107], v[66:67]
	v_mul_f64 v[70:71], v[106:107], v[64:65]
	s_clause 0x3
	buffer_load_dword v106, off, s[40:43], 0 offset:396
	buffer_load_dword v107, off, s[40:43], 0 offset:400
	;; [unrolled: 1-line block ×4, first 2 shown]
	v_fma_f64 v[64:65], v[104:105], v[64:65], v[68:69]
	v_fma_f64 v[66:67], v[104:105], v[66:67], -v[70:71]
	s_waitcnt vmcnt(0)
	v_mul_f64 v[72:73], v[108:109], v[38:39]
	v_mul_f64 v[74:75], v[108:109], v[36:37]
	s_clause 0x3
	buffer_load_dword v108, off, s[40:43], 0 offset:412
	buffer_load_dword v109, off, s[40:43], 0 offset:416
	;; [unrolled: 1-line block ×4, first 2 shown]
	v_fma_f64 v[68:69], v[106:107], v[36:37], v[72:73]
	v_fma_f64 v[70:71], v[106:107], v[38:39], -v[74:75]
	v_add_f64 v[36:37], v[12:13], -v[64:65]
	v_add_f64 v[38:39], v[14:15], -v[66:67]
	v_fma_f64 v[12:13], v[12:13], 2.0, -v[36:37]
	v_fma_f64 v[14:15], v[14:15], 2.0, -v[38:39]
	s_waitcnt vmcnt(0)
	v_mul_f64 v[76:77], v[110:111], v[42:43]
	v_mul_f64 v[78:79], v[110:111], v[40:41]
	s_clause 0x3
	buffer_load_dword v110, off, s[40:43], 0 offset:428
	buffer_load_dword v111, off, s[40:43], 0 offset:432
	;; [unrolled: 1-line block ×4, first 2 shown]
	v_fma_f64 v[72:73], v[108:109], v[40:41], v[76:77]
	v_fma_f64 v[74:75], v[108:109], v[42:43], -v[78:79]
	v_add_f64 v[40:41], v[16:17], -v[68:69]
	v_add_f64 v[42:43], v[18:19], -v[70:71]
	v_fma_f64 v[16:17], v[16:17], 2.0, -v[40:41]
	v_fma_f64 v[18:19], v[18:19], 2.0, -v[42:43]
	s_waitcnt vmcnt(0)
	v_mul_f64 v[80:81], v[112:113], v[46:47]
	v_mul_f64 v[82:83], v[112:113], v[44:45]
	s_clause 0xb
	buffer_load_dword v112, off, s[40:43], 0 offset:444
	buffer_load_dword v113, off, s[40:43], 0 offset:448
	;; [unrolled: 1-line block ×12, first 2 shown]
	s_waitcnt vmcnt(0) lgkmcnt(0)
	s_barrier
	buffer_gl0_inv
	v_fma_f64 v[76:77], v[110:111], v[44:45], v[80:81]
	v_fma_f64 v[78:79], v[110:111], v[46:47], -v[82:83]
	v_add_f64 v[44:45], v[24:25], -v[72:73]
	v_add_f64 v[46:47], v[26:27], -v[74:75]
	v_fma_f64 v[24:25], v[24:25], 2.0, -v[44:45]
	v_fma_f64 v[26:27], v[26:27], 2.0, -v[46:47]
	v_mul_f64 v[84:85], v[114:115], v[50:51]
	v_mul_f64 v[88:89], v[62:63], v[58:59]
	;; [unrolled: 1-line block ×6, first 2 shown]
	v_fma_f64 v[80:81], v[112:113], v[48:49], v[84:85]
	v_fma_f64 v[56:57], v[60:61], v[56:57], v[88:89]
	v_fma_f64 v[58:59], v[60:61], v[58:59], -v[94:95]
	buffer_load_dword v60, off, s[40:43], 0 offset:504 ; 4-byte Folded Reload
	v_fma_f64 v[82:83], v[112:113], v[50:51], -v[86:87]
	v_add_f64 v[48:49], v[20:21], -v[76:77]
	v_add_f64 v[50:51], v[22:23], -v[78:79]
	v_fma_f64 v[84:85], v[100:101], v[52:53], v[96:97]
	v_fma_f64 v[86:87], v[100:101], v[54:55], -v[98:99]
	s_waitcnt vmcnt(0)
	ds_write_b128 v60, v[36:39] offset:176
	ds_write_b128 v60, v[12:15]
	buffer_load_dword v12, off, s[40:43], 0 offset:500 ; 4-byte Folded Reload
	v_fma_f64 v[20:21], v[20:21], 2.0, -v[48:49]
	v_fma_f64 v[22:23], v[22:23], 2.0, -v[50:51]
	v_add_f64 v[52:53], v[32:33], -v[80:81]
	v_add_f64 v[54:55], v[34:35], -v[82:83]
	v_add_f64 v[56:57], v[28:29], -v[56:57]
	v_add_f64 v[58:59], v[30:31], -v[58:59]
	v_add_f64 v[64:65], v[8:9], -v[84:85]
	v_add_f64 v[66:67], v[10:11], -v[86:87]
	s_waitcnt vmcnt(0)
	ds_write_b128 v12, v[16:19]
	ds_write_b128 v12, v[40:43] offset:176
	buffer_load_dword v12, off, s[40:43], 0 offset:496 ; 4-byte Folded Reload
	v_fma_f64 v[32:33], v[32:33], 2.0, -v[52:53]
	v_fma_f64 v[34:35], v[34:35], 2.0, -v[54:55]
	;; [unrolled: 1-line block ×6, first 2 shown]
	s_waitcnt vmcnt(0)
	ds_write_b128 v12, v[24:27]
	ds_write_b128 v12, v[44:47] offset:176
	buffer_load_dword v12, off, s[40:43], 0 offset:488 ; 4-byte Folded Reload
	s_waitcnt vmcnt(0)
	ds_write_b128 v12, v[20:23]
	ds_write_b128 v12, v[48:51] offset:176
	buffer_load_dword v12, off, s[40:43], 0 offset:480 ; 4-byte Folded Reload
	s_waitcnt vmcnt(0)
	ds_write_b128 v12, v[32:35]
	ds_write_b128 v12, v[52:55] offset:176
	buffer_load_dword v12, off, s[40:43], 0 offset:492 ; 4-byte Folded Reload
	s_waitcnt vmcnt(0)
	ds_write_b128 v12, v[28:31]
	ds_write_b128 v12, v[56:59] offset:176
	buffer_load_dword v12, off, s[40:43], 0 offset:484 ; 4-byte Folded Reload
	s_waitcnt vmcnt(0)
	ds_write_b128 v12, v[8:11]
	ds_write_b128 v12, v[64:67] offset:176
	s_and_saveexec_b32 s1, s0
	s_cbranch_execz .LBB0_21
; %bb.20:
	s_clause 0x3
	buffer_load_dword v12, off, s[40:43], 0 offset:680
	buffer_load_dword v13, off, s[40:43], 0 offset:684
	;; [unrolled: 1-line block ×4, first 2 shown]
	s_waitcnt vmcnt(0)
	v_mul_f64 v[8:9], v[14:15], v[4:5]
	v_mul_f64 v[10:11], v[14:15], v[6:7]
	v_fma_f64 v[6:7], v[12:13], v[6:7], -v[8:9]
	buffer_load_dword v9, off, s[40:43], 0 offset:460 ; 4-byte Folded Reload
	v_fma_f64 v[4:5], v[12:13], v[4:5], v[10:11]
	v_mov_b32_e32 v8, 4
	v_add_f64 v[6:7], v[2:3], -v[6:7]
	v_add_f64 v[4:5], v[0:1], -v[4:5]
	v_fma_f64 v[2:3], v[2:3], 2.0, -v[6:7]
	v_fma_f64 v[0:1], v[0:1], 2.0, -v[4:5]
	s_waitcnt vmcnt(0)
	v_lshlrev_b32_sdwa v8, v8, v9 dst_sel:DWORD dst_unused:UNUSED_PAD src0_sel:DWORD src1_sel:WORD_0
	ds_write_b128 v8, v[0:3]
	ds_write_b128 v8, v[4:7] offset:176
.LBB0_21:
	s_or_b32 exec_lo, exec_lo, s1
	s_waitcnt lgkmcnt(0)
	s_barrier
	buffer_gl0_inv
	ds_read_b128 v[0:3], v142 offset:8800
	ds_read_b128 v[4:7], v142 offset:7040
	s_mov_b32 s0, 0xe8584caa
	s_mov_b32 s1, 0xbfebb67a
	;; [unrolled: 1-line block ×8, first 2 shown]
	s_waitcnt lgkmcnt(1)
	v_mul_f64 v[8:9], v[150:151], v[2:3]
	v_fma_f64 v[16:17], v[148:149], v[0:1], v[8:9]
	v_mul_f64 v[0:1], v[150:151], v[0:1]
	v_fma_f64 v[18:19], v[148:149], v[2:3], -v[0:1]
	ds_read_b128 v[0:3], v142 offset:17600
	ds_read_b128 v[8:11], v142 offset:19360
	s_waitcnt lgkmcnt(1)
	v_mul_f64 v[12:13], v[146:147], v[2:3]
	v_fma_f64 v[20:21], v[144:145], v[0:1], v[12:13]
	v_mul_f64 v[0:1], v[146:147], v[0:1]
	v_fma_f64 v[22:23], v[144:145], v[2:3], -v[0:1]
	ds_read_b128 v[0:3], v142 offset:10560
	ds_read_b128 v[12:15], v142 offset:12320
	s_waitcnt lgkmcnt(1)
	v_mul_f64 v[24:25], v[92:93], v[2:3]
	v_fma_f64 v[28:29], v[90:91], v[0:1], v[24:25]
	s_clause 0x3
	buffer_load_dword v24, off, s[40:43], 0 offset:636
	buffer_load_dword v25, off, s[40:43], 0 offset:640
	;; [unrolled: 1-line block ×4, first 2 shown]
	v_mul_f64 v[0:1], v[92:93], v[0:1]
	v_fma_f64 v[30:31], v[90:91], v[2:3], -v[0:1]
	s_waitcnt vmcnt(0)
	v_mul_f64 v[0:1], v[26:27], v[10:11]
	v_fma_f64 v[32:33], v[24:25], v[8:9], v[0:1]
	v_mul_f64 v[0:1], v[26:27], v[8:9]
	v_fma_f64 v[34:35], v[24:25], v[10:11], -v[0:1]
	s_clause 0x3
	buffer_load_dword v8, off, s[40:43], 0 offset:620
	buffer_load_dword v9, off, s[40:43], 0 offset:624
	;; [unrolled: 1-line block ×4, first 2 shown]
	s_waitcnt vmcnt(0) lgkmcnt(0)
	v_mul_f64 v[0:1], v[10:11], v[14:15]
	v_fma_f64 v[36:37], v[8:9], v[12:13], v[0:1]
	v_mul_f64 v[0:1], v[10:11], v[12:13]
	v_fma_f64 v[38:39], v[8:9], v[14:15], -v[0:1]
	ds_read_b128 v[0:3], v142 offset:21120
	ds_read_b128 v[8:11], v142 offset:22880
	s_clause 0x3
	buffer_load_dword v24, off, s[40:43], 0 offset:604
	buffer_load_dword v25, off, s[40:43], 0 offset:608
	;; [unrolled: 1-line block ×4, first 2 shown]
	s_waitcnt vmcnt(0) lgkmcnt(1)
	v_mul_f64 v[12:13], v[26:27], v[2:3]
	v_fma_f64 v[40:41], v[24:25], v[0:1], v[12:13]
	v_mul_f64 v[0:1], v[26:27], v[0:1]
	v_fma_f64 v[42:43], v[24:25], v[2:3], -v[0:1]
	ds_read_b128 v[0:3], v142 offset:14080
	ds_read_b128 v[12:15], v142 offset:15840
	s_clause 0x3
	buffer_load_dword v46, off, s[40:43], 0 offset:572
	buffer_load_dword v47, off, s[40:43], 0 offset:576
	;; [unrolled: 1-line block ×4, first 2 shown]
	s_waitcnt vmcnt(0) lgkmcnt(1)
	v_mul_f64 v[24:25], v[48:49], v[2:3]
	v_fma_f64 v[44:45], v[46:47], v[0:1], v[24:25]
	s_clause 0x3
	buffer_load_dword v24, off, s[40:43], 0 offset:556
	buffer_load_dword v25, off, s[40:43], 0 offset:560
	;; [unrolled: 1-line block ×4, first 2 shown]
	v_mul_f64 v[0:1], v[48:49], v[0:1]
	v_fma_f64 v[46:47], v[46:47], v[2:3], -v[0:1]
	s_waitcnt vmcnt(0)
	v_mul_f64 v[0:1], v[26:27], v[10:11]
	v_fma_f64 v[48:49], v[24:25], v[8:9], v[0:1]
	v_mul_f64 v[0:1], v[26:27], v[8:9]
	v_fma_f64 v[50:51], v[24:25], v[10:11], -v[0:1]
	s_clause 0x3
	buffer_load_dword v8, off, s[40:43], 0 offset:588
	buffer_load_dword v9, off, s[40:43], 0 offset:592
	;; [unrolled: 1-line block ×4, first 2 shown]
	s_waitcnt vmcnt(0) lgkmcnt(0)
	v_mul_f64 v[0:1], v[10:11], v[14:15]
	v_fma_f64 v[52:53], v[8:9], v[12:13], v[0:1]
	v_mul_f64 v[0:1], v[10:11], v[12:13]
	v_fma_f64 v[54:55], v[8:9], v[14:15], -v[0:1]
	ds_read_b128 v[0:3], v142 offset:24640
	s_clause 0x3
	buffer_load_dword v10, off, s[40:43], 0 offset:540
	buffer_load_dword v11, off, s[40:43], 0 offset:544
	;; [unrolled: 1-line block ×4, first 2 shown]
	s_waitcnt vmcnt(0) lgkmcnt(0)
	v_mul_f64 v[8:9], v[12:13], v[2:3]
	v_fma_f64 v[56:57], v[10:11], v[0:1], v[8:9]
	v_mul_f64 v[0:1], v[12:13], v[0:1]
	v_add_f64 v[12:13], v[16:17], v[20:21]
	v_fma_f64 v[58:59], v[10:11], v[2:3], -v[0:1]
	ds_read_b128 v[0:3], v142
	ds_read_b128 v[8:11], v142 offset:1760
	s_waitcnt lgkmcnt(1)
	v_fma_f64 v[14:15], v[12:13], -0.5, v[0:1]
	v_add_f64 v[12:13], v[18:19], v[22:23]
	v_add_f64 v[0:1], v[0:1], v[16:17]
	v_fma_f64 v[24:25], v[12:13], -0.5, v[2:3]
	v_add_f64 v[2:3], v[2:3], v[18:19]
	v_add_f64 v[18:19], v[18:19], -v[22:23]
	v_add_f64 v[0:1], v[0:1], v[20:21]
	v_add_f64 v[20:21], v[16:17], -v[20:21]
	v_add_f64 v[2:3], v[2:3], v[22:23]
	v_fma_f64 v[12:13], v[18:19], s[0:1], v[14:15]
	v_fma_f64 v[16:17], v[18:19], s[4:5], v[14:15]
	;; [unrolled: 1-line block ×4, first 2 shown]
	ds_read_b128 v[20:23], v142 offset:3520
	ds_read_b128 v[24:27], v142 offset:5280
	s_waitcnt lgkmcnt(0)
	s_barrier
	buffer_gl0_inv
	buffer_load_dword v60, off, s[40:43], 0 offset:668 ; 4-byte Folded Reload
	s_waitcnt vmcnt(0)
	ds_write_b128 v60, v[0:3]
	ds_write_b128 v60, v[12:15] offset:352
	ds_write_b128 v60, v[16:19] offset:704
	v_add_f64 v[0:1], v[28:29], v[32:33]
	v_add_f64 v[16:17], v[28:29], -v[32:33]
	v_fma_f64 v[12:13], v[0:1], -0.5, v[8:9]
	v_add_f64 v[0:1], v[30:31], v[34:35]
	v_add_f64 v[8:9], v[8:9], v[28:29]
	v_fma_f64 v[14:15], v[0:1], -0.5, v[10:11]
	v_add_f64 v[0:1], v[10:11], v[30:31]
	v_add_f64 v[10:11], v[30:31], -v[34:35]
	v_add_f64 v[2:3], v[0:1], v[34:35]
	v_add_f64 v[0:1], v[8:9], v[32:33]
	v_fma_f64 v[8:9], v[10:11], s[0:1], v[12:13]
	v_fma_f64 v[12:13], v[10:11], s[4:5], v[12:13]
	;; [unrolled: 1-line block ×4, first 2 shown]
	buffer_load_dword v16, off, s[40:43], 0 offset:664 ; 4-byte Folded Reload
	s_waitcnt vmcnt(0)
	ds_write_b128 v16, v[0:3]
	ds_write_b128 v16, v[8:11] offset:352
	ds_write_b128 v16, v[12:15] offset:704
	v_add_f64 v[0:1], v[36:37], v[40:41]
	v_add_f64 v[8:9], v[20:21], v[36:37]
	v_add_f64 v[12:13], v[38:39], -v[42:43]
	v_add_f64 v[16:17], v[36:37], -v[40:41]
	v_fma_f64 v[10:11], v[0:1], -0.5, v[20:21]
	v_add_f64 v[0:1], v[38:39], v[42:43]
	v_fma_f64 v[14:15], v[0:1], -0.5, v[22:23]
	v_add_f64 v[0:1], v[22:23], v[38:39]
	v_add_f64 v[2:3], v[0:1], v[42:43]
	;; [unrolled: 1-line block ×3, first 2 shown]
	v_fma_f64 v[8:9], v[12:13], s[0:1], v[10:11]
	v_fma_f64 v[12:13], v[12:13], s[4:5], v[10:11]
	;; [unrolled: 1-line block ×4, first 2 shown]
	buffer_load_dword v16, off, s[40:43], 0 offset:660 ; 4-byte Folded Reload
	s_waitcnt vmcnt(0)
	ds_write_b128 v16, v[0:3]
	ds_write_b128 v16, v[8:11] offset:352
	ds_write_b128 v16, v[12:15] offset:704
	v_add_f64 v[0:1], v[44:45], v[48:49]
	v_add_f64 v[8:9], v[24:25], v[44:45]
	v_add_f64 v[12:13], v[46:47], -v[50:51]
	v_add_f64 v[16:17], v[44:45], -v[48:49]
	v_fma_f64 v[10:11], v[0:1], -0.5, v[24:25]
	v_add_f64 v[0:1], v[46:47], v[50:51]
	v_fma_f64 v[14:15], v[0:1], -0.5, v[26:27]
	v_add_f64 v[0:1], v[26:27], v[46:47]
	v_add_f64 v[2:3], v[0:1], v[50:51]
	;; [unrolled: 1-line block ×3, first 2 shown]
	v_fma_f64 v[8:9], v[12:13], s[0:1], v[10:11]
	v_fma_f64 v[12:13], v[12:13], s[4:5], v[10:11]
	;; [unrolled: 1-line block ×4, first 2 shown]
	buffer_load_dword v16, off, s[40:43], 0 offset:656 ; 4-byte Folded Reload
	s_waitcnt vmcnt(0)
	ds_write_b128 v16, v[0:3]
	ds_write_b128 v16, v[8:11] offset:352
	ds_write_b128 v16, v[12:15] offset:704
	v_add_f64 v[0:1], v[52:53], v[56:57]
	v_add_f64 v[12:13], v[52:53], -v[56:57]
	v_fma_f64 v[8:9], v[0:1], -0.5, v[4:5]
	v_add_f64 v[0:1], v[54:55], v[58:59]
	v_add_f64 v[4:5], v[4:5], v[52:53]
	v_fma_f64 v[10:11], v[0:1], -0.5, v[6:7]
	v_add_f64 v[0:1], v[6:7], v[54:55]
	v_add_f64 v[6:7], v[54:55], -v[58:59]
	v_add_f64 v[2:3], v[0:1], v[58:59]
	v_add_f64 v[0:1], v[4:5], v[56:57]
	v_fma_f64 v[4:5], v[6:7], s[0:1], v[8:9]
	v_fma_f64 v[8:9], v[6:7], s[4:5], v[8:9]
	;; [unrolled: 1-line block ×4, first 2 shown]
	buffer_load_dword v12, off, s[40:43], 0 offset:652 ; 4-byte Folded Reload
	s_mov_b32 s4, 0x134454ff
	s_mov_b32 s5, 0xbfee6f0e
	;; [unrolled: 1-line block ×6, first 2 shown]
	s_waitcnt vmcnt(0)
	ds_write_b128 v12, v[0:3]
	ds_write_b128 v12, v[4:7] offset:352
	ds_write_b128 v12, v[8:11] offset:704
	s_waitcnt lgkmcnt(0)
	s_barrier
	buffer_gl0_inv
	ds_read_b128 v[0:3], v142 offset:10560
	ds_read_b128 v[4:7], v142 offset:12320
	s_waitcnt lgkmcnt(1)
	v_mul_f64 v[8:9], v[234:235], v[2:3]
	v_fma_f64 v[24:25], v[232:233], v[0:1], v[8:9]
	v_mul_f64 v[0:1], v[234:235], v[0:1]
	v_fma_f64 v[26:27], v[232:233], v[2:3], -v[0:1]
	ds_read_b128 v[0:3], v142 offset:15840
	ds_read_b128 v[8:11], v142 offset:14080
	s_waitcnt lgkmcnt(1)
	v_mul_f64 v[12:13], v[206:207], v[2:3]
	v_fma_f64 v[28:29], v[204:205], v[0:1], v[12:13]
	v_mul_f64 v[0:1], v[206:207], v[0:1]
	v_add_f64 v[76:77], v[24:25], -v[28:29]
	v_fma_f64 v[30:31], v[204:205], v[2:3], -v[0:1]
	ds_read_b128 v[0:3], v142 offset:5280
	ds_read_b128 v[12:15], v142 offset:3520
	s_clause 0x3
	buffer_load_dword v18, off, s[40:43], 0 offset:464
	buffer_load_dword v19, off, s[40:43], 0 offset:468
	;; [unrolled: 1-line block ×4, first 2 shown]
	v_add_f64 v[72:73], v[26:27], -v[30:31]
	s_waitcnt vmcnt(0) lgkmcnt(1)
	v_mul_f64 v[16:17], v[20:21], v[2:3]
	v_fma_f64 v[32:33], v[18:19], v[0:1], v[16:17]
	v_mul_f64 v[0:1], v[20:21], v[0:1]
	v_fma_f64 v[34:35], v[18:19], v[2:3], -v[0:1]
	ds_read_b128 v[0:3], v142 offset:21120
	ds_read_b128 v[16:19], v142 offset:22880
	s_waitcnt lgkmcnt(1)
	v_mul_f64 v[20:21], v[154:155], v[2:3]
	v_fma_f64 v[36:37], v[152:153], v[0:1], v[20:21]
	v_mul_f64 v[0:1], v[154:155], v[0:1]
	v_add_f64 v[78:79], v[32:33], -v[36:37]
	v_fma_f64 v[38:39], v[152:153], v[2:3], -v[0:1]
	ds_read_b128 v[0:3], v142 offset:7040
	ds_read_b128 v[20:23], v142 offset:8800
	s_waitcnt lgkmcnt(1)
	v_mul_f64 v[40:41], v[158:159], v[2:3]
	v_add_f64 v[74:75], v[34:35], -v[38:39]
	v_fma_f64 v[40:41], v[156:157], v[0:1], v[40:41]
	v_mul_f64 v[0:1], v[158:159], v[0:1]
	v_fma_f64 v[42:43], v[156:157], v[2:3], -v[0:1]
	v_mul_f64 v[0:1], v[162:163], v[6:7]
	v_fma_f64 v[44:45], v[160:161], v[4:5], v[0:1]
	v_mul_f64 v[0:1], v[162:163], v[4:5]
	v_fma_f64 v[46:47], v[160:161], v[6:7], -v[0:1]
	ds_read_b128 v[0:3], v142 offset:17600
	ds_read_b128 v[4:7], v142 offset:19360
	s_waitcnt lgkmcnt(1)
	v_mul_f64 v[48:49], v[214:215], v[2:3]
	v_fma_f64 v[48:49], v[212:213], v[0:1], v[48:49]
	v_mul_f64 v[0:1], v[214:215], v[0:1]
	v_fma_f64 v[50:51], v[212:213], v[2:3], -v[0:1]
	v_mul_f64 v[0:1], v[210:211], v[18:19]
	v_fma_f64 v[52:53], v[208:209], v[16:17], v[0:1]
	v_mul_f64 v[0:1], v[210:211], v[16:17]
	v_fma_f64 v[54:55], v[208:209], v[18:19], -v[0:1]
	;; [unrolled: 4-line block ×3, first 2 shown]
	v_mul_f64 v[0:1], v[218:219], v[10:11]
	v_fma_f64 v[60:61], v[216:217], v[8:9], v[0:1]
	v_mul_f64 v[0:1], v[218:219], v[8:9]
	v_add_f64 v[8:9], v[32:33], v[36:37]
	v_fma_f64 v[62:63], v[216:217], v[10:11], -v[0:1]
	s_waitcnt lgkmcnt(0)
	v_mul_f64 v[0:1], v[230:231], v[6:7]
	v_fma_f64 v[64:65], v[228:229], v[4:5], v[0:1]
	v_mul_f64 v[0:1], v[230:231], v[4:5]
	v_fma_f64 v[66:67], v[228:229], v[6:7], -v[0:1]
	ds_read_b128 v[0:3], v142 offset:24640
	s_waitcnt lgkmcnt(0)
	v_mul_f64 v[4:5], v[222:223], v[2:3]
	v_fma_f64 v[68:69], v[220:221], v[0:1], v[4:5]
	v_mul_f64 v[0:1], v[222:223], v[0:1]
	v_fma_f64 v[70:71], v[220:221], v[2:3], -v[0:1]
	v_add_f64 v[0:1], v[24:25], -v[32:33]
	v_add_f64 v[2:3], v[28:29], -v[36:37]
	v_add_f64 v[16:17], v[0:1], v[2:3]
	v_add_f64 v[0:1], v[26:27], -v[34:35]
	v_add_f64 v[2:3], v[30:31], -v[38:39]
	v_add_f64 v[18:19], v[0:1], v[2:3]
	ds_read_b128 v[0:3], v142
	ds_read_b128 v[4:7], v142 offset:1760
	s_waitcnt lgkmcnt(0)
	s_barrier
	buffer_gl0_inv
	v_fma_f64 v[20:21], v[8:9], -0.5, v[0:1]
	v_add_f64 v[8:9], v[34:35], v[38:39]
	v_fma_f64 v[22:23], v[8:9], -0.5, v[2:3]
	v_fma_f64 v[8:9], v[72:73], s[14:15], v[20:21]
	v_fma_f64 v[20:21], v[72:73], s[4:5], v[20:21]
	;; [unrolled: 1-line block ×10, first 2 shown]
	v_add_f64 v[20:21], v[24:25], v[28:29]
	v_fma_f64 v[10:11], v[18:19], s[12:13], v[10:11]
	v_fma_f64 v[18:19], v[18:19], s[12:13], v[22:23]
	v_add_f64 v[22:23], v[26:27], v[30:31]
	v_fma_f64 v[20:21], v[20:21], -0.5, v[0:1]
	v_add_f64 v[0:1], v[0:1], v[32:33]
	v_add_f64 v[32:33], v[32:33], -v[24:25]
	v_fma_f64 v[22:23], v[22:23], -0.5, v[2:3]
	v_add_f64 v[2:3], v[2:3], v[34:35]
	v_add_f64 v[0:1], v[0:1], v[24:25]
	v_add_f64 v[24:25], v[34:35], -v[26:27]
	v_fma_f64 v[34:35], v[78:79], s[14:15], v[22:23]
	v_add_f64 v[2:3], v[2:3], v[26:27]
	v_add_f64 v[26:27], v[36:37], -v[28:29]
	v_add_f64 v[0:1], v[0:1], v[28:29]
	v_add_f64 v[28:29], v[38:39], -v[30:31]
	v_fma_f64 v[22:23], v[78:79], s[4:5], v[22:23]
	v_add_f64 v[2:3], v[2:3], v[30:31]
	v_fma_f64 v[30:31], v[74:75], s[4:5], v[20:21]
	v_fma_f64 v[20:21], v[74:75], s[14:15], v[20:21]
	v_add_f64 v[26:27], v[32:33], v[26:27]
	v_add_f64 v[28:29], v[24:25], v[28:29]
	v_fma_f64 v[32:33], v[76:77], s[6:7], v[34:35]
	v_fma_f64 v[34:35], v[76:77], s[0:1], v[22:23]
	v_add_f64 v[0:1], v[0:1], v[36:37]
	v_add_f64 v[2:3], v[2:3], v[38:39]
	v_fma_f64 v[24:25], v[72:73], s[0:1], v[30:31]
	v_fma_f64 v[30:31], v[72:73], s[6:7], v[20:21]
	v_add_f64 v[38:39], v[58:59], -v[70:71]
	v_fma_f64 v[22:23], v[28:29], s[12:13], v[32:33]
	v_add_f64 v[32:33], v[52:53], -v[48:49]
	v_fma_f64 v[20:21], v[26:27], s[12:13], v[24:25]
	v_fma_f64 v[24:25], v[26:27], s[12:13], v[30:31]
	;; [unrolled: 1-line block ×3, first 2 shown]
	ds_write_b128 v127, v[0:3]
	ds_write_b128 v127, v[20:23] offset:1056
	ds_write_b128 v127, v[8:11] offset:2112
	;; [unrolled: 1-line block ×4, first 2 shown]
	v_add_f64 v[0:1], v[44:45], -v[40:41]
	v_add_f64 v[2:3], v[48:49], -v[52:53]
	;; [unrolled: 1-line block ×8, first 2 shown]
	v_add_f64 v[8:9], v[0:1], v[2:3]
	v_add_f64 v[0:1], v[46:47], -v[42:43]
	v_add_f64 v[2:3], v[50:51], -v[54:55]
	v_add_f64 v[10:11], v[0:1], v[2:3]
	v_add_f64 v[0:1], v[40:41], v[52:53]
	v_fma_f64 v[16:17], v[0:1], -0.5, v[4:5]
	v_add_f64 v[0:1], v[42:43], v[54:55]
	v_fma_f64 v[18:19], v[0:1], -0.5, v[6:7]
	v_fma_f64 v[0:1], v[20:21], s[14:15], v[16:17]
	v_fma_f64 v[16:17], v[20:21], s[4:5], v[16:17]
	;; [unrolled: 1-line block ×10, first 2 shown]
	v_add_f64 v[16:17], v[44:45], v[48:49]
	v_fma_f64 v[2:3], v[10:11], s[12:13], v[2:3]
	v_fma_f64 v[10:11], v[10:11], s[12:13], v[18:19]
	v_add_f64 v[18:19], v[46:47], v[50:51]
	v_fma_f64 v[16:17], v[16:17], -0.5, v[4:5]
	v_add_f64 v[4:5], v[4:5], v[40:41]
	v_add_f64 v[40:41], v[60:61], -v[64:65]
	v_fma_f64 v[18:19], v[18:19], -0.5, v[6:7]
	v_add_f64 v[6:7], v[6:7], v[42:43]
	v_fma_f64 v[30:31], v[22:23], s[4:5], v[16:17]
	v_add_f64 v[4:5], v[4:5], v[44:45]
	v_fma_f64 v[16:17], v[22:23], s[14:15], v[16:17]
	v_add_f64 v[22:23], v[42:43], -v[46:47]
	v_add_f64 v[42:43], v[56:57], -v[68:69]
	v_add_f64 v[44:45], v[56:57], -v[60:61]
	v_fma_f64 v[36:37], v[26:27], s[14:15], v[18:19]
	v_add_f64 v[6:7], v[6:7], v[46:47]
	v_fma_f64 v[18:19], v[26:27], s[4:5], v[18:19]
	v_add_f64 v[4:5], v[4:5], v[48:49]
	v_add_f64 v[26:27], v[28:29], v[32:33]
	v_fma_f64 v[28:29], v[20:21], s[0:1], v[30:31]
	v_add_f64 v[22:23], v[22:23], v[34:35]
	v_fma_f64 v[20:21], v[20:21], s[6:7], v[16:17]
	v_add_f64 v[48:49], v[68:69], -v[64:65]
	v_fma_f64 v[30:31], v[24:25], s[6:7], v[36:37]
	v_add_f64 v[6:7], v[6:7], v[50:51]
	v_fma_f64 v[24:25], v[24:25], s[0:1], v[18:19]
	v_add_f64 v[4:5], v[4:5], v[52:53]
	v_add_f64 v[36:37], v[62:63], -v[66:67]
	v_fma_f64 v[16:17], v[26:27], s[12:13], v[28:29]
	v_add_f64 v[50:51], v[70:71], -v[66:67]
	v_fma_f64 v[20:21], v[26:27], s[12:13], v[20:21]
	;; [unrolled: 2-line block ×3, first 2 shown]
	v_add_f64 v[6:7], v[6:7], v[54:55]
	v_fma_f64 v[22:23], v[22:23], s[12:13], v[24:25]
	ds_write_b128 v126, v[4:7]
	ds_write_b128 v126, v[16:19] offset:1056
	ds_write_b128 v126, v[0:3] offset:2112
	;; [unrolled: 1-line block ×4, first 2 shown]
	buffer_load_dword v0, off, s[40:43], 0 offset:672 ; 4-byte Folded Reload
	v_add_f64 v[24:25], v[60:61], -v[56:57]
	v_add_f64 v[28:29], v[24:25], v[26:27]
	v_add_f64 v[24:25], v[62:63], -v[58:59]
	v_add_f64 v[26:27], v[66:67], -v[70:71]
	v_add_f64 v[30:31], v[24:25], v[26:27]
	v_add_f64 v[24:25], v[56:57], v[68:69]
	v_fma_f64 v[32:33], v[24:25], -0.5, v[12:13]
	v_add_f64 v[24:25], v[58:59], v[70:71]
	v_fma_f64 v[34:35], v[24:25], -0.5, v[14:15]
	v_fma_f64 v[24:25], v[36:37], s[14:15], v[32:33]
	v_fma_f64 v[32:33], v[36:37], s[4:5], v[32:33]
	;; [unrolled: 1-line block ×10, first 2 shown]
	v_add_f64 v[32:33], v[60:61], v[64:65]
	v_fma_f64 v[26:27], v[30:31], s[12:13], v[26:27]
	v_fma_f64 v[30:31], v[30:31], s[12:13], v[34:35]
	v_add_f64 v[34:35], v[62:63], v[66:67]
	v_fma_f64 v[32:33], v[32:33], -0.5, v[12:13]
	v_add_f64 v[12:13], v[12:13], v[56:57]
	v_fma_f64 v[34:35], v[34:35], -0.5, v[14:15]
	v_add_f64 v[14:15], v[14:15], v[58:59]
	v_fma_f64 v[46:47], v[38:39], s[4:5], v[32:33]
	v_add_f64 v[12:13], v[12:13], v[60:61]
	v_fma_f64 v[32:33], v[38:39], s[14:15], v[32:33]
	v_add_f64 v[38:39], v[58:59], -v[62:63]
	v_fma_f64 v[52:53], v[42:43], s[14:15], v[34:35]
	v_add_f64 v[14:15], v[14:15], v[62:63]
	v_fma_f64 v[34:35], v[42:43], s[4:5], v[34:35]
	v_add_f64 v[12:13], v[12:13], v[64:65]
	v_add_f64 v[42:43], v[44:45], v[48:49]
	v_fma_f64 v[44:45], v[36:37], s[0:1], v[46:47]
	v_add_f64 v[38:39], v[38:39], v[50:51]
	v_fma_f64 v[36:37], v[36:37], s[6:7], v[32:33]
	v_fma_f64 v[46:47], v[40:41], s[6:7], v[52:53]
	v_add_f64 v[14:15], v[14:15], v[66:67]
	v_fma_f64 v[40:41], v[40:41], s[0:1], v[34:35]
	v_add_f64 v[12:13], v[12:13], v[68:69]
	v_fma_f64 v[32:33], v[42:43], s[12:13], v[44:45]
	v_fma_f64 v[36:37], v[42:43], s[12:13], v[36:37]
	;; [unrolled: 1-line block ×3, first 2 shown]
	v_add_f64 v[14:15], v[14:15], v[70:71]
	v_fma_f64 v[38:39], v[38:39], s[12:13], v[40:41]
	s_waitcnt vmcnt(0)
	ds_write_b128 v0, v[12:15]
	ds_write_b128 v0, v[32:35] offset:1056
	ds_write_b128 v0, v[24:27] offset:2112
	;; [unrolled: 1-line block ×4, first 2 shown]
	s_waitcnt lgkmcnt(0)
	s_barrier
	buffer_gl0_inv
	ds_read_b128 v[8:11], v142 offset:10560
	ds_read_b128 v[0:3], v142 offset:15840
	;; [unrolled: 1-line block ×5, first 2 shown]
	s_waitcnt lgkmcnt(4)
	v_mul_f64 v[20:21], v[238:239], v[10:11]
	v_mul_f64 v[22:23], v[238:239], v[8:9]
	s_waitcnt lgkmcnt(3)
	v_mul_f64 v[24:25], v[174:175], v[2:3]
	v_mul_f64 v[26:27], v[174:175], v[0:1]
	;; [unrolled: 3-line block ×3, first 2 shown]
	v_fma_f64 v[28:29], v[236:237], v[8:9], v[20:21]
	v_fma_f64 v[8:9], v[236:237], v[10:11], -v[22:23]
	ds_read_b128 v[20:23], v142 offset:3520
	s_clause 0x3
	buffer_load_dword v36, off, s[40:43], 0 offset:508
	buffer_load_dword v37, off, s[40:43], 0 offset:512
	;; [unrolled: 1-line block ×4, first 2 shown]
	v_fma_f64 v[32:33], v[172:173], v[0:1], v[24:25]
	v_fma_f64 v[34:35], v[172:173], v[2:3], -v[26:27]
	ds_read_b128 v[0:3], v142 offset:21120
	v_fma_f64 v[44:45], v[188:189], v[4:5], v[44:45]
	v_fma_f64 v[46:47], v[188:189], v[6:7], -v[46:47]
	v_add_f64 v[68:69], v[8:9], v[34:35]
	s_waitcnt vmcnt(0) lgkmcnt(2)
	v_mul_f64 v[10:11], v[38:39], v[18:19]
	v_mul_f64 v[30:31], v[38:39], v[16:17]
	v_fma_f64 v[10:11], v[36:37], v[16:17], v[10:11]
	v_fma_f64 v[30:31], v[36:37], v[18:19], -v[30:31]
	ds_read_b128 v[16:19], v142 offset:22880
	s_clause 0x3
	buffer_load_dword v40, off, s[40:43], 0 offset:524
	buffer_load_dword v41, off, s[40:43], 0 offset:528
	;; [unrolled: 1-line block ×4, first 2 shown]
	ds_read_b128 v[24:27], v142 offset:7040
	ds_read_b128 v[4:7], v142 offset:19360
	s_waitcnt lgkmcnt(0)
	v_mul_f64 v[60:61], v[194:195], v[6:7]
	v_mul_f64 v[62:63], v[194:195], v[4:5]
	v_fma_f64 v[60:61], v[192:193], v[4:5], v[60:61]
	v_fma_f64 v[62:63], v[192:193], v[6:7], -v[62:63]
	ds_read_b128 v[4:7], v142 offset:1760
	s_waitcnt vmcnt(0)
	v_mul_f64 v[36:37], v[42:43], v[2:3]
	v_mul_f64 v[38:39], v[42:43], v[0:1]
	v_fma_f64 v[36:37], v[40:41], v[0:1], v[36:37]
	v_fma_f64 v[38:39], v[40:41], v[2:3], -v[38:39]
	ds_read_b128 v[0:3], v142 offset:8800
	v_mul_f64 v[40:41], v[186:187], v[26:27]
	v_mul_f64 v[42:43], v[186:187], v[24:25]
	s_waitcnt lgkmcnt(0)
	v_mul_f64 v[52:53], v[198:199], v[2:3]
	v_mul_f64 v[54:55], v[198:199], v[0:1]
	v_add_f64 v[70:71], v[30:31], v[38:39]
	v_fma_f64 v[40:41], v[184:185], v[24:25], v[40:41]
	v_fma_f64 v[42:43], v[184:185], v[26:27], -v[42:43]
	ds_read_b128 v[24:27], v142 offset:17600
	v_add_f64 v[78:79], v[38:39], -v[34:35]
	v_fma_f64 v[52:53], v[196:197], v[0:1], v[52:53]
	v_fma_f64 v[54:55], v[196:197], v[2:3], -v[54:55]
	ds_read_b128 v[0:3], v142
	s_waitcnt lgkmcnt(1)
	v_mul_f64 v[48:49], v[182:183], v[26:27]
	v_mul_f64 v[50:51], v[182:183], v[24:25]
	v_fma_f64 v[48:49], v[180:181], v[24:25], v[48:49]
	v_fma_f64 v[50:51], v[180:181], v[26:27], -v[50:51]
	v_mul_f64 v[24:25], v[170:171], v[18:19]
	v_mul_f64 v[26:27], v[170:171], v[16:17]
	v_add_f64 v[80:81], v[44:45], v[48:49]
	v_fma_f64 v[56:57], v[168:169], v[16:17], v[24:25]
	v_fma_f64 v[58:59], v[168:169], v[18:19], -v[26:27]
	v_mul_f64 v[24:25], v[202:203], v[14:15]
	v_mul_f64 v[26:27], v[202:203], v[12:13]
	ds_read_b128 v[16:19], v142 offset:24640
	v_fma_f64 v[64:65], v[200:201], v[12:13], v[24:25]
	v_fma_f64 v[66:67], v[200:201], v[14:15], -v[26:27]
	v_add_f64 v[12:13], v[28:29], v[32:33]
	s_waitcnt lgkmcnt(0)
	v_mul_f64 v[14:15], v[178:179], v[18:19]
	v_mul_f64 v[24:25], v[178:179], v[16:17]
	v_add_f64 v[26:27], v[10:11], v[36:37]
	v_fma_f64 v[12:13], v[12:13], -0.5, v[0:1]
	v_fma_f64 v[72:73], v[176:177], v[16:17], v[14:15]
	v_fma_f64 v[74:75], v[176:177], v[18:19], -v[24:25]
	v_add_f64 v[14:15], v[10:11], -v[28:29]
	v_add_f64 v[16:17], v[36:37], -v[32:33]
	v_add_f64 v[18:19], v[30:31], -v[38:39]
	v_add_f64 v[24:25], v[0:1], v[10:11]
	v_fma_f64 v[0:1], v[26:27], -0.5, v[0:1]
	v_fma_f64 v[26:27], v[68:69], -0.5, v[2:3]
	;; [unrolled: 1-line block ×3, first 2 shown]
	v_add_f64 v[70:71], v[8:9], -v[34:35]
	v_add_f64 v[2:3], v[2:3], v[30:31]
	v_add_f64 v[14:15], v[14:15], v[16:17]
	v_fma_f64 v[16:17], v[18:19], s[4:5], v[12:13]
	v_fma_f64 v[12:13], v[18:19], s[14:15], v[12:13]
	v_add_f64 v[24:25], v[24:25], v[28:29]
	v_fma_f64 v[76:77], v[70:71], s[14:15], v[0:1]
	v_fma_f64 v[0:1], v[70:71], s[4:5], v[0:1]
	;; [unrolled: 3-line block ×3, first 2 shown]
	v_add_f64 v[70:71], v[28:29], -v[10:11]
	v_add_f64 v[28:29], v[28:29], -v[32:33]
	v_add_f64 v[24:25], v[24:25], v[32:33]
	v_add_f64 v[32:33], v[32:33], -v[36:37]
	v_add_f64 v[10:11], v[10:11], -v[36:37]
	v_add_f64 v[2:3], v[2:3], v[34:35]
	v_add_f64 v[34:35], v[34:35], -v[38:39]
	v_fma_f64 v[12:13], v[14:15], s[12:13], v[12:13]
	v_add_f64 v[32:33], v[70:71], v[32:33]
	v_add_f64 v[70:71], v[30:31], -v[8:9]
	v_add_f64 v[8:9], v[8:9], -v[30:31]
	v_fma_f64 v[30:31], v[10:11], s[14:15], v[26:27]
	v_fma_f64 v[26:27], v[10:11], s[4:5], v[26:27]
	v_add_f64 v[2:3], v[2:3], v[38:39]
	v_add_f64 v[38:39], v[42:43], v[58:59]
	;; [unrolled: 1-line block ×3, first 2 shown]
	v_fma_f64 v[78:79], v[28:29], s[4:5], v[68:69]
	v_fma_f64 v[30:31], v[28:29], s[6:7], v[30:31]
	;; [unrolled: 1-line block ×4, first 2 shown]
	v_add_f64 v[34:35], v[8:9], v[34:35]
	v_fma_f64 v[68:69], v[18:19], s[0:1], v[76:77]
	v_fma_f64 v[8:9], v[14:15], s[12:13], v[16:17]
	;; [unrolled: 1-line block ×4, first 2 shown]
	v_add_f64 v[0:1], v[24:25], v[36:37]
	v_fma_f64 v[28:29], v[10:11], s[0:1], v[28:29]
	v_fma_f64 v[10:11], v[70:71], s[12:13], v[30:31]
	v_add_f64 v[30:31], v[40:41], v[56:57]
	v_fma_f64 v[14:15], v[70:71], s[12:13], v[26:27]
	v_add_f64 v[36:37], v[46:47], v[50:51]
	v_fma_f64 v[16:17], v[32:33], s[12:13], v[68:69]
	v_add_f64 v[68:69], v[42:43], -v[58:59]
	v_add_f64 v[70:71], v[4:5], v[40:41]
	v_fma_f64 v[18:19], v[34:35], s[12:13], v[76:77]
	v_fma_f64 v[24:25], v[32:33], s[12:13], v[78:79]
	v_add_f64 v[32:33], v[40:41], -v[44:45]
	v_fma_f64 v[26:27], v[34:35], s[12:13], v[28:29]
	v_fma_f64 v[28:29], v[80:81], -0.5, v[4:5]
	v_add_f64 v[34:35], v[56:57], -v[48:49]
	v_fma_f64 v[4:5], v[30:31], -0.5, v[4:5]
	v_fma_f64 v[30:31], v[36:37], -0.5, v[6:7]
	;; [unrolled: 1-line block ×3, first 2 shown]
	v_add_f64 v[38:39], v[46:47], -v[50:51]
	v_add_f64 v[6:7], v[6:7], v[42:43]
	v_add_f64 v[32:33], v[32:33], v[34:35]
	v_fma_f64 v[34:35], v[68:69], s[4:5], v[28:29]
	v_fma_f64 v[28:29], v[68:69], s[14:15], v[28:29]
	v_add_f64 v[6:7], v[6:7], v[46:47]
	v_fma_f64 v[34:35], v[38:39], s[0:1], v[34:35]
	v_fma_f64 v[76:77], v[38:39], s[6:7], v[28:29]
	;; [unrolled: 1-line block ×4, first 2 shown]
	v_add_f64 v[38:39], v[70:71], v[44:45]
	v_add_f64 v[70:71], v[44:45], -v[40:41]
	v_add_f64 v[44:45], v[44:45], -v[48:49]
	v_add_f64 v[6:7], v[6:7], v[50:51]
	v_add_f64 v[38:39], v[38:39], v[48:49]
	v_add_f64 v[48:49], v[48:49], -v[56:57]
	v_add_f64 v[6:7], v[6:7], v[58:59]
	v_add_f64 v[48:49], v[70:71], v[48:49]
	v_add_f64 v[70:71], v[42:43], -v[46:47]
	v_add_f64 v[42:43], v[46:47], -v[42:43]
	v_fma_f64 v[46:47], v[68:69], s[0:1], v[28:29]
	v_fma_f64 v[68:69], v[68:69], s[6:7], v[4:5]
	v_add_f64 v[4:5], v[58:59], -v[50:51]
	v_add_f64 v[28:29], v[40:41], -v[56:57]
	v_add_f64 v[40:41], v[70:71], v[4:5]
	v_fma_f64 v[4:5], v[28:29], s[14:15], v[30:31]
	v_fma_f64 v[30:31], v[28:29], s[4:5], v[30:31]
	;; [unrolled: 1-line block ×5, first 2 shown]
	v_add_f64 v[4:5], v[50:51], -v[58:59]
	v_fma_f64 v[44:45], v[44:45], s[0:1], v[30:31]
	v_add_f64 v[58:59], v[54:55], v[74:75]
	v_fma_f64 v[50:51], v[28:29], s[6:7], v[70:71]
	v_fma_f64 v[70:71], v[28:29], s[0:1], v[36:37]
	v_fma_f64 v[28:29], v[32:33], s[12:13], v[34:35]
	v_add_f64 v[36:37], v[64:65], v[60:61]
	v_fma_f64 v[32:33], v[32:33], s[12:13], v[76:77]
	v_add_f64 v[76:77], v[54:55], -v[66:67]
	v_fma_f64 v[30:31], v[40:41], s[12:13], v[78:79]
	v_add_f64 v[42:43], v[42:43], v[4:5]
	v_add_f64 v[4:5], v[38:39], v[56:57]
	;; [unrolled: 1-line block ×4, first 2 shown]
	v_fma_f64 v[34:35], v[40:41], s[12:13], v[44:45]
	v_fma_f64 v[44:45], v[58:59], -0.5, v[22:23]
	v_add_f64 v[58:59], v[72:73], -v[60:61]
	v_fma_f64 v[36:37], v[36:37], -0.5, v[20:21]
	v_fma_f64 v[40:41], v[56:57], -0.5, v[22:23]
	v_add_f64 v[56:57], v[52:53], -v[64:65]
	v_fma_f64 v[38:39], v[38:39], -0.5, v[20:21]
	v_add_f64 v[20:21], v[20:21], v[52:53]
	v_add_f64 v[22:23], v[22:23], v[54:55]
	v_add_f64 v[56:57], v[56:57], v[58:59]
	v_add_f64 v[58:59], v[54:55], -v[74:75]
	v_add_f64 v[54:55], v[66:67], -v[54:55]
	v_add_f64 v[22:23], v[22:23], v[66:67]
	v_add_f64 v[66:67], v[66:67], -v[62:63]
	v_add_f64 v[20:21], v[20:21], v[64:65]
	v_fma_f64 v[78:79], v[58:59], s[4:5], v[36:37]
	v_fma_f64 v[36:37], v[58:59], s[14:15], v[36:37]
	;; [unrolled: 1-line block ×4, first 2 shown]
	v_add_f64 v[82:83], v[20:21], v[60:61]
	v_add_f64 v[20:21], v[64:65], -v[52:53]
	v_fma_f64 v[78:79], v[66:67], s[0:1], v[78:79]
	v_fma_f64 v[66:67], v[66:67], s[6:7], v[36:37]
	v_add_f64 v[36:37], v[64:65], -v[60:61]
	v_add_f64 v[60:61], v[60:61], -v[72:73]
	v_fma_f64 v[64:65], v[58:59], s[0:1], v[80:81]
	v_fma_f64 v[58:59], v[58:59], s[6:7], v[38:39]
	v_add_f64 v[80:81], v[22:23], v[62:63]
	v_fma_f64 v[22:23], v[36:37], s[4:5], v[44:45]
	v_add_f64 v[60:61], v[20:21], v[60:61]
	v_add_f64 v[20:21], v[74:75], -v[62:63]
	v_fma_f64 v[38:39], v[36:37], s[14:15], v[44:45]
	v_add_f64 v[76:77], v[76:77], v[20:21]
	v_add_f64 v[20:21], v[62:63], -v[74:75]
	v_add_f64 v[54:55], v[54:55], v[20:21]
	v_add_f64 v[20:21], v[52:53], -v[72:73]
	v_fma_f64 v[44:45], v[20:21], s[14:15], v[40:41]
	v_fma_f64 v[40:41], v[20:21], s[4:5], v[40:41]
	;; [unrolled: 1-line block ×7, first 2 shown]
	v_add_f64 v[42:43], v[80:81], v[74:75]
	s_mov_b32 s4, 0x3dc013dc
	s_mov_b32 s5, 0x3f43dc01
	v_fma_f64 v[84:85], v[36:37], s[6:7], v[44:45]
	v_fma_f64 v[86:87], v[36:37], s[0:1], v[40:41]
	;; [unrolled: 1-line block ×3, first 2 shown]
	v_add_f64 v[40:41], v[82:83], v[72:73]
	v_fma_f64 v[44:45], v[56:57], s[12:13], v[78:79]
	v_fma_f64 v[48:49], v[60:61], s[12:13], v[64:65]
	;; [unrolled: 1-line block ×6, first 2 shown]
	s_mul_hi_u32 s1, s8, 0x96
	v_fma_f64 v[46:47], v[76:77], s[12:13], v[84:85]
	v_fma_f64 v[54:55], v[76:77], s[12:13], v[86:87]
	ds_write_b128 v142, v[0:3]
	ds_write_b128 v142, v[8:11] offset:5280
	ds_write_b128 v142, v[16:19] offset:10560
	;; [unrolled: 1-line block ×14, first 2 shown]
	s_waitcnt lgkmcnt(0)
	s_barrier
	buffer_gl0_inv
	ds_read_b128 v[0:3], v142
	ds_read_b128 v[4:7], v142 offset:2400
	s_clause 0xa
	buffer_load_dword v18, off, s[40:43], 0 offset:172
	buffer_load_dword v19, off, s[40:43], 0 offset:176
	;; [unrolled: 1-line block ×11, first 2 shown]
	s_waitcnt vmcnt(7) lgkmcnt(1)
	v_mul_f64 v[8:9], v[20:21], v[2:3]
	v_mul_f64 v[10:11], v[20:21], v[0:1]
	s_waitcnt vmcnt(6)
	v_mov_b32_e32 v14, v12
	s_waitcnt vmcnt(0) lgkmcnt(0)
	v_mul_f64 v[20:21], v[30:31], v[6:7]
	v_mul_f64 v[22:23], v[30:31], v[4:5]
	v_mad_u64_u32 v[16:17], null, s10, v14, 0
	v_mov_b32_e32 v12, v17
	v_fma_f64 v[8:9], v[18:19], v[0:1], v[8:9]
	v_fma_f64 v[10:11], v[18:19], v[2:3], -v[10:11]
	v_mad_u64_u32 v[18:19], null, s8, v24, 0
	ds_read_b128 v[0:3], v142 offset:4800
	v_fma_f64 v[20:21], v[28:29], v[4:5], v[20:21]
	v_mov_b32_e32 v13, v19
	v_mad_u64_u32 v[14:15], null, s11, v14, v[12:13]
	v_mul_f64 v[8:9], v[8:9], s[4:5]
	v_mad_u64_u32 v[12:13], null, s9, v24, v[13:14]
	v_mov_b32_e32 v17, v14
	v_mul_f64 v[10:11], v[10:11], s[4:5]
	v_lshlrev_b64 v[4:5], 4, v[16:17]
	v_mov_b32_e32 v19, v12
	ds_read_b128 v[12:15], v142 offset:7200
	s_clause 0x3
	buffer_load_dword v30, off, s[40:43], 0 offset:316
	buffer_load_dword v31, off, s[40:43], 0 offset:320
	;; [unrolled: 1-line block ×4, first 2 shown]
	v_lshlrev_b64 v[16:17], 4, v[18:19]
	v_fma_f64 v[18:19], v[28:29], v[6:7], -v[22:23]
	v_add_co_u32 v22, s0, s2, v4
	v_add_co_ci_u32_e64 v23, s0, s3, v5, s0
	ds_read_b128 v[4:7], v142 offset:9600
	v_add_co_u32 v28, s0, v22, v16
	v_add_co_ci_u32_e64 v29, s0, v23, v17, s0
	s_mul_i32 s0, s9, 0x96
	s_add_i32 s1, s1, s0
	global_store_dwordx4 v[28:29], v[8:11], off
	s_clause 0x3
	buffer_load_dword v50, off, s[40:43], 0 offset:252
	buffer_load_dword v51, off, s[40:43], 0 offset:256
	;; [unrolled: 1-line block ×4, first 2 shown]
	s_mul_i32 s0, s8, 0x96
	ds_read_b128 v[8:11], v142 offset:12000
	s_lshl_b64 s[2:3], s[0:1], 4
	s_clause 0x3
	buffer_load_dword v56, off, s[40:43], 0 offset:236
	buffer_load_dword v57, off, s[40:43], 0 offset:240
	;; [unrolled: 1-line block ×4, first 2 shown]
	v_add_co_u32 v48, s0, v28, s2
	v_add_co_ci_u32_e64 v49, s0, s3, v29, s0
	s_waitcnt vmcnt(8) lgkmcnt(3)
	v_mul_f64 v[24:25], v[32:33], v[2:3]
	v_mul_f64 v[26:27], v[32:33], v[0:1]
	s_waitcnt vmcnt(4) lgkmcnt(2)
	v_mul_f64 v[40:41], v[52:53], v[14:15]
	v_mul_f64 v[42:43], v[52:53], v[12:13]
	v_fma_f64 v[32:33], v[30:31], v[0:1], v[24:25]
	v_mul_f64 v[0:1], v[20:21], s[4:5]
	v_fma_f64 v[34:35], v[30:31], v[2:3], -v[26:27]
	v_mul_f64 v[2:3], v[18:19], s[4:5]
	ds_read_b128 v[16:19], v142 offset:14400
	ds_read_b128 v[20:23], v142 offset:16800
	;; [unrolled: 1-line block ×5, first 2 shown]
	s_clause 0xb
	buffer_load_dword v76, off, s[40:43], 0 offset:220
	buffer_load_dword v77, off, s[40:43], 0 offset:224
	;; [unrolled: 1-line block ×12, first 2 shown]
	s_waitcnt vmcnt(12) lgkmcnt(6)
	v_mul_f64 v[44:45], v[58:59], v[6:7]
	v_mul_f64 v[46:47], v[58:59], v[4:5]
	v_fma_f64 v[12:13], v[50:51], v[12:13], v[40:41]
	v_fma_f64 v[14:15], v[50:51], v[14:15], -v[42:43]
	v_add_co_u32 v50, s0, v48, s2
	v_mul_f64 v[32:33], v[32:33], s[4:5]
	v_add_co_ci_u32_e64 v51, s0, s3, v49, s0
	v_mul_f64 v[34:35], v[34:35], s[4:5]
	v_fma_f64 v[4:5], v[56:57], v[4:5], v[44:45]
	v_fma_f64 v[6:7], v[56:57], v[6:7], -v[46:47]
	v_mul_f64 v[4:5], v[4:5], s[4:5]
	v_mul_f64 v[6:7], v[6:7], s[4:5]
	s_waitcnt vmcnt(8) lgkmcnt(5)
	v_mul_f64 v[40:41], v[78:79], v[10:11]
	v_mul_f64 v[42:43], v[78:79], v[8:9]
	s_clause 0x3
	buffer_load_dword v78, off, s[40:43], 0 offset:268
	buffer_load_dword v79, off, s[40:43], 0 offset:272
	;; [unrolled: 1-line block ×4, first 2 shown]
	s_waitcnt vmcnt(8) lgkmcnt(4)
	v_mul_f64 v[52:53], v[74:75], v[18:19]
	v_mul_f64 v[54:55], v[74:75], v[16:17]
	s_waitcnt vmcnt(4) lgkmcnt(3)
	v_mul_f64 v[44:45], v[70:71], v[22:23]
	v_mul_f64 v[46:47], v[70:71], v[20:21]
	v_fma_f64 v[8:9], v[76:77], v[8:9], v[40:41]
	v_fma_f64 v[10:11], v[76:77], v[10:11], -v[42:43]
	v_mul_f64 v[8:9], v[8:9], s[4:5]
	v_mul_f64 v[10:11], v[10:11], s[4:5]
	s_waitcnt vmcnt(0) lgkmcnt(2)
	v_mul_f64 v[56:57], v[80:81], v[26:27]
	v_mul_f64 v[58:59], v[80:81], v[24:25]
	s_clause 0x3
	buffer_load_dword v80, off, s[40:43], 0 offset:284
	buffer_load_dword v81, off, s[40:43], 0 offset:288
	;; [unrolled: 1-line block ×4, first 2 shown]
	s_waitcnt vmcnt(0) lgkmcnt(1)
	v_mul_f64 v[60:61], v[82:83], v[30:31]
	v_mul_f64 v[62:63], v[82:83], v[28:29]
	s_clause 0x3
	buffer_load_dword v82, off, s[40:43], 0 offset:300
	buffer_load_dword v83, off, s[40:43], 0 offset:304
	;; [unrolled: 1-line block ×4, first 2 shown]
	global_store_dwordx4 v[48:49], v[0:3], off
	global_store_dwordx4 v[50:51], v[32:35], off
	v_mul_f64 v[0:1], v[12:13], s[4:5]
	v_mul_f64 v[2:3], v[14:15], s[4:5]
	v_fma_f64 v[12:13], v[72:73], v[16:17], v[52:53]
	v_fma_f64 v[14:15], v[72:73], v[18:19], -v[54:55]
	v_fma_f64 v[16:17], v[68:69], v[20:21], v[44:45]
	v_fma_f64 v[18:19], v[68:69], v[22:23], -v[46:47]
	v_add_co_u32 v32, s0, v50, s2
	v_fma_f64 v[20:21], v[78:79], v[24:25], v[56:57]
	v_fma_f64 v[22:23], v[78:79], v[26:27], -v[58:59]
	v_add_co_ci_u32_e64 v33, s0, s3, v51, s0
	v_add_co_u32 v34, s0, v32, s2
	v_add_co_ci_u32_e64 v35, s0, s3, v33, s0
	v_fma_f64 v[24:25], v[80:81], v[28:29], v[60:61]
	v_fma_f64 v[26:27], v[80:81], v[30:31], -v[62:63]
	global_store_dwordx4 v[32:33], v[0:3], off
	v_mul_f64 v[12:13], v[12:13], s[4:5]
	v_mul_f64 v[14:15], v[14:15], s[4:5]
	;; [unrolled: 1-line block ×4, first 2 shown]
	global_store_dwordx4 v[34:35], v[4:7], off
	v_mul_f64 v[20:21], v[20:21], s[4:5]
	v_mul_f64 v[22:23], v[22:23], s[4:5]
	;; [unrolled: 1-line block ×4, first 2 shown]
	s_waitcnt vmcnt(0) lgkmcnt(0)
	v_mul_f64 v[64:65], v[84:85], v[38:39]
	v_mul_f64 v[66:67], v[84:85], v[36:37]
	v_fma_f64 v[28:29], v[82:83], v[36:37], v[64:65]
	v_fma_f64 v[30:31], v[82:83], v[38:39], -v[66:67]
	v_add_co_u32 v36, s0, v34, s2
	v_add_co_ci_u32_e64 v37, s0, s3, v35, s0
	v_add_co_u32 v38, s0, v36, s2
	v_add_co_ci_u32_e64 v39, s0, s3, v37, s0
	global_store_dwordx4 v[36:37], v[8:11], off
	v_add_co_u32 v40, s0, v38, s2
	v_add_co_ci_u32_e64 v41, s0, s3, v39, s0
	v_add_co_u32 v2, s0, v40, s2
	v_add_co_ci_u32_e64 v3, s0, s3, v41, s0
	v_mul_f64 v[28:29], v[28:29], s[4:5]
	v_mul_f64 v[30:31], v[30:31], s[4:5]
	v_add_co_u32 v4, s0, v2, s2
	v_add_co_ci_u32_e64 v5, s0, s3, v3, s0
	v_add_co_u32 v0, s0, v4, s2
	v_add_co_ci_u32_e64 v1, s0, s3, v5, s0
	global_store_dwordx4 v[38:39], v[12:15], off
	global_store_dwordx4 v[40:41], v[16:19], off
	;; [unrolled: 1-line block ×5, first 2 shown]
	s_and_b32 exec_lo, exec_lo, vcc_lo
	s_cbranch_execz .LBB0_23
; %bb.22:
	global_load_dwordx4 v[2:5], v[128:129], off offset:1760
	ds_read_b128 v[6:9], v142 offset:1760
	ds_read_b128 v[10:13], v142 offset:4160
	s_mul_i32 s0, s9, 0xffffa920
	s_sub_i32 s0, s0, s8
	s_waitcnt vmcnt(0) lgkmcnt(1)
	v_mul_f64 v[14:15], v[8:9], v[4:5]
	v_mul_f64 v[4:5], v[6:7], v[4:5]
	v_fma_f64 v[6:7], v[6:7], v[2:3], v[14:15]
	v_fma_f64 v[4:5], v[2:3], v[8:9], -v[4:5]
	v_mul_f64 v[2:3], v[6:7], s[4:5]
	v_mul_f64 v[4:5], v[4:5], s[4:5]
	v_mad_u64_u32 v[6:7], null, 0xffffa920, s8, v[0:1]
	v_add_nc_u32_e32 v7, s0, v7
	global_store_dwordx4 v[6:7], v[2:5], off
	s_clause 0x1
	buffer_load_dword v0, off, s[40:43], 0 offset:136
	buffer_load_dword v1, off, s[40:43], 0 offset:140
	s_waitcnt vmcnt(0)
	global_load_dwordx4 v[0:3], v[0:1], off offset:64
	s_waitcnt vmcnt(0) lgkmcnt(0)
	v_mul_f64 v[4:5], v[12:13], v[2:3]
	v_mul_f64 v[2:3], v[10:11], v[2:3]
	v_fma_f64 v[4:5], v[10:11], v[0:1], v[4:5]
	v_fma_f64 v[2:3], v[0:1], v[12:13], -v[2:3]
	v_add_co_u32 v12, vcc_lo, v6, s2
	v_add_co_ci_u32_e32 v13, vcc_lo, s3, v7, vcc_lo
	v_mul_f64 v[0:1], v[4:5], s[4:5]
	v_mul_f64 v[2:3], v[2:3], s[4:5]
	global_store_dwordx4 v[12:13], v[0:3], off
	s_clause 0x1
	buffer_load_dword v0, off, s[40:43], 0 offset:144
	buffer_load_dword v1, off, s[40:43], 0 offset:148
	s_waitcnt vmcnt(0)
	global_load_dwordx4 v[0:3], v[0:1], off offset:416
	ds_read_b128 v[4:7], v142 offset:6560
	ds_read_b128 v[8:11], v142 offset:8960
	s_waitcnt vmcnt(0) lgkmcnt(1)
	v_mul_f64 v[14:15], v[6:7], v[2:3]
	v_mul_f64 v[2:3], v[4:5], v[2:3]
	v_fma_f64 v[4:5], v[4:5], v[0:1], v[14:15]
	v_fma_f64 v[2:3], v[0:1], v[6:7], -v[2:3]
	v_mul_f64 v[0:1], v[4:5], s[4:5]
	v_mul_f64 v[2:3], v[2:3], s[4:5]
	v_add_co_u32 v4, vcc_lo, v12, s2
	v_add_co_ci_u32_e32 v5, vcc_lo, s3, v13, vcc_lo
	v_add_co_u32 v12, vcc_lo, v4, s2
	v_add_co_ci_u32_e32 v13, vcc_lo, s3, v5, vcc_lo
	global_store_dwordx4 v[4:5], v[0:3], off
	s_clause 0x1
	buffer_load_dword v0, off, s[40:43], 0 offset:128
	buffer_load_dword v1, off, s[40:43], 0 offset:132
	s_waitcnt vmcnt(0)
	global_load_dwordx4 v[0:3], v[0:1], off offset:768
	s_waitcnt vmcnt(0) lgkmcnt(0)
	v_mul_f64 v[6:7], v[10:11], v[2:3]
	v_mul_f64 v[2:3], v[8:9], v[2:3]
	v_fma_f64 v[6:7], v[8:9], v[0:1], v[6:7]
	v_fma_f64 v[2:3], v[0:1], v[10:11], -v[2:3]
	v_mul_f64 v[0:1], v[6:7], s[4:5]
	v_mul_f64 v[2:3], v[2:3], s[4:5]
	global_store_dwordx4 v[12:13], v[0:3], off
	s_clause 0x1
	buffer_load_dword v0, off, s[40:43], 0 offset:112
	buffer_load_dword v1, off, s[40:43], 0 offset:116
	s_waitcnt vmcnt(0)
	global_load_dwordx4 v[0:3], v[0:1], off offset:1120
	ds_read_b128 v[4:7], v142 offset:11360
	ds_read_b128 v[8:11], v142 offset:13760
	s_waitcnt vmcnt(0) lgkmcnt(1)
	v_mul_f64 v[14:15], v[6:7], v[2:3]
	v_mul_f64 v[2:3], v[4:5], v[2:3]
	v_fma_f64 v[4:5], v[4:5], v[0:1], v[14:15]
	v_fma_f64 v[2:3], v[0:1], v[6:7], -v[2:3]
	v_mul_f64 v[0:1], v[4:5], s[4:5]
	v_mul_f64 v[2:3], v[2:3], s[4:5]
	v_add_co_u32 v4, vcc_lo, v12, s2
	v_add_co_ci_u32_e32 v5, vcc_lo, s3, v13, vcc_lo
	v_add_co_u32 v6, vcc_lo, 0x3000, v128
	v_add_co_ci_u32_e32 v7, vcc_lo, 0, v129, vcc_lo
	;; [unrolled: 2-line block ×3, first 2 shown]
	global_store_dwordx4 v[4:5], v[0:3], off
	global_load_dwordx4 v[0:3], v[6:7], off offset:1472
	s_waitcnt vmcnt(0) lgkmcnt(0)
	v_mul_f64 v[6:7], v[10:11], v[2:3]
	v_mul_f64 v[2:3], v[8:9], v[2:3]
	v_fma_f64 v[6:7], v[8:9], v[0:1], v[6:7]
	v_fma_f64 v[2:3], v[0:1], v[10:11], -v[2:3]
	v_mul_f64 v[0:1], v[6:7], s[4:5]
	v_mul_f64 v[2:3], v[2:3], s[4:5]
	global_store_dwordx4 v[12:13], v[0:3], off
	s_clause 0x1
	buffer_load_dword v0, off, s[40:43], 0 offset:96
	buffer_load_dword v1, off, s[40:43], 0 offset:100
	s_waitcnt vmcnt(0)
	global_load_dwordx4 v[0:3], v[0:1], off offset:1824
	ds_read_b128 v[4:7], v142 offset:16160
	ds_read_b128 v[8:11], v142 offset:18560
	s_waitcnt vmcnt(0) lgkmcnt(1)
	v_mul_f64 v[14:15], v[6:7], v[2:3]
	v_mul_f64 v[2:3], v[4:5], v[2:3]
	v_fma_f64 v[4:5], v[4:5], v[0:1], v[14:15]
	v_fma_f64 v[2:3], v[0:1], v[6:7], -v[2:3]
	v_mul_f64 v[0:1], v[4:5], s[4:5]
	v_mul_f64 v[2:3], v[2:3], s[4:5]
	v_add_co_u32 v4, vcc_lo, v12, s2
	v_add_co_ci_u32_e32 v5, vcc_lo, s3, v13, vcc_lo
	v_add_co_u32 v12, vcc_lo, v4, s2
	v_add_co_ci_u32_e32 v13, vcc_lo, s3, v5, vcc_lo
	global_store_dwordx4 v[4:5], v[0:3], off
	s_clause 0x1
	buffer_load_dword v0, off, s[40:43], 0 offset:104
	buffer_load_dword v1, off, s[40:43], 0 offset:108
	s_waitcnt vmcnt(0)
	global_load_dwordx4 v[0:3], v[0:1], off offset:128
	s_waitcnt vmcnt(0) lgkmcnt(0)
	v_mul_f64 v[6:7], v[10:11], v[2:3]
	v_mul_f64 v[2:3], v[8:9], v[2:3]
	v_fma_f64 v[6:7], v[8:9], v[0:1], v[6:7]
	v_fma_f64 v[2:3], v[0:1], v[10:11], -v[2:3]
	v_mul_f64 v[0:1], v[6:7], s[4:5]
	v_mul_f64 v[2:3], v[2:3], s[4:5]
	global_store_dwordx4 v[12:13], v[0:3], off
	s_clause 0x1
	buffer_load_dword v0, off, s[40:43], 0 offset:152
	buffer_load_dword v1, off, s[40:43], 0 offset:156
	s_waitcnt vmcnt(0)
	global_load_dwordx4 v[0:3], v[0:1], off offset:480
	ds_read_b128 v[4:7], v142 offset:20960
	ds_read_b128 v[8:11], v142 offset:23360
	s_waitcnt vmcnt(0) lgkmcnt(1)
	v_mul_f64 v[14:15], v[6:7], v[2:3]
	v_mul_f64 v[2:3], v[4:5], v[2:3]
	v_fma_f64 v[4:5], v[4:5], v[0:1], v[14:15]
	v_fma_f64 v[2:3], v[0:1], v[6:7], -v[2:3]
	v_mul_f64 v[0:1], v[4:5], s[4:5]
	v_mul_f64 v[2:3], v[2:3], s[4:5]
	v_add_co_u32 v4, vcc_lo, v12, s2
	v_add_co_ci_u32_e32 v5, vcc_lo, s3, v13, vcc_lo
	global_store_dwordx4 v[4:5], v[0:3], off
	s_clause 0x1
	buffer_load_dword v0, off, s[40:43], 0 offset:120
	buffer_load_dword v1, off, s[40:43], 0 offset:124
	s_waitcnt vmcnt(0)
	global_load_dwordx4 v[0:3], v[0:1], off offset:832
	s_waitcnt vmcnt(0) lgkmcnt(0)
	v_mul_f64 v[6:7], v[10:11], v[2:3]
	v_mul_f64 v[2:3], v[8:9], v[2:3]
	v_fma_f64 v[6:7], v[8:9], v[0:1], v[6:7]
	v_fma_f64 v[2:3], v[0:1], v[10:11], -v[2:3]
	v_add_co_u32 v8, vcc_lo, v4, s2
	v_add_co_ci_u32_e32 v9, vcc_lo, s3, v5, vcc_lo
	v_mul_f64 v[0:1], v[6:7], s[4:5]
	v_mul_f64 v[2:3], v[2:3], s[4:5]
	global_store_dwordx4 v[8:9], v[0:3], off
	s_clause 0x1
	buffer_load_dword v0, off, s[40:43], 0 offset:696
	buffer_load_dword v1, off, s[40:43], 0 offset:700
	ds_read_b128 v[4:7], v142 offset:25760
	s_waitcnt vmcnt(0)
	global_load_dwordx4 v[0:3], v[0:1], off offset:1184
	s_waitcnt vmcnt(0) lgkmcnt(0)
	v_mul_f64 v[10:11], v[6:7], v[2:3]
	v_mul_f64 v[2:3], v[4:5], v[2:3]
	v_fma_f64 v[4:5], v[4:5], v[0:1], v[10:11]
	v_fma_f64 v[2:3], v[0:1], v[6:7], -v[2:3]
	v_mul_f64 v[0:1], v[4:5], s[4:5]
	v_mul_f64 v[2:3], v[2:3], s[4:5]
	v_add_co_u32 v4, vcc_lo, v8, s2
	v_add_co_ci_u32_e32 v5, vcc_lo, s3, v9, vcc_lo
	global_store_dwordx4 v[4:5], v[0:3], off
.LBB0_23:
	s_endpgm
	.section	.rodata,"a",@progbits
	.p2align	6, 0x0
	.amdhsa_kernel bluestein_single_fwd_len1650_dim1_dp_op_CI_CI
		.amdhsa_group_segment_fixed_size 26400
		.amdhsa_private_segment_fixed_size 708
		.amdhsa_kernarg_size 104
		.amdhsa_user_sgpr_count 6
		.amdhsa_user_sgpr_private_segment_buffer 1
		.amdhsa_user_sgpr_dispatch_ptr 0
		.amdhsa_user_sgpr_queue_ptr 0
		.amdhsa_user_sgpr_kernarg_segment_ptr 1
		.amdhsa_user_sgpr_dispatch_id 0
		.amdhsa_user_sgpr_flat_scratch_init 0
		.amdhsa_user_sgpr_private_segment_size 0
		.amdhsa_wavefront_size32 1
		.amdhsa_uses_dynamic_stack 0
		.amdhsa_system_sgpr_private_segment_wavefront_offset 1
		.amdhsa_system_sgpr_workgroup_id_x 1
		.amdhsa_system_sgpr_workgroup_id_y 0
		.amdhsa_system_sgpr_workgroup_id_z 0
		.amdhsa_system_sgpr_workgroup_info 0
		.amdhsa_system_vgpr_workitem_id 0
		.amdhsa_next_free_vgpr 256
		.amdhsa_next_free_sgpr 44
		.amdhsa_reserve_vcc 1
		.amdhsa_reserve_flat_scratch 0
		.amdhsa_float_round_mode_32 0
		.amdhsa_float_round_mode_16_64 0
		.amdhsa_float_denorm_mode_32 3
		.amdhsa_float_denorm_mode_16_64 3
		.amdhsa_dx10_clamp 1
		.amdhsa_ieee_mode 1
		.amdhsa_fp16_overflow 0
		.amdhsa_workgroup_processor_mode 1
		.amdhsa_memory_ordered 1
		.amdhsa_forward_progress 0
		.amdhsa_shared_vgpr_count 0
		.amdhsa_exception_fp_ieee_invalid_op 0
		.amdhsa_exception_fp_denorm_src 0
		.amdhsa_exception_fp_ieee_div_zero 0
		.amdhsa_exception_fp_ieee_overflow 0
		.amdhsa_exception_fp_ieee_underflow 0
		.amdhsa_exception_fp_ieee_inexact 0
		.amdhsa_exception_int_div_zero 0
	.end_amdhsa_kernel
	.text
.Lfunc_end0:
	.size	bluestein_single_fwd_len1650_dim1_dp_op_CI_CI, .Lfunc_end0-bluestein_single_fwd_len1650_dim1_dp_op_CI_CI
                                        ; -- End function
	.section	.AMDGPU.csdata,"",@progbits
; Kernel info:
; codeLenInByte = 35000
; NumSgprs: 46
; NumVgprs: 256
; ScratchSize: 708
; MemoryBound: 0
; FloatMode: 240
; IeeeMode: 1
; LDSByteSize: 26400 bytes/workgroup (compile time only)
; SGPRBlocks: 5
; VGPRBlocks: 31
; NumSGPRsForWavesPerEU: 46
; NumVGPRsForWavesPerEU: 256
; Occupancy: 4
; WaveLimiterHint : 1
; COMPUTE_PGM_RSRC2:SCRATCH_EN: 1
; COMPUTE_PGM_RSRC2:USER_SGPR: 6
; COMPUTE_PGM_RSRC2:TRAP_HANDLER: 0
; COMPUTE_PGM_RSRC2:TGID_X_EN: 1
; COMPUTE_PGM_RSRC2:TGID_Y_EN: 0
; COMPUTE_PGM_RSRC2:TGID_Z_EN: 0
; COMPUTE_PGM_RSRC2:TIDIG_COMP_CNT: 0
	.text
	.p2alignl 6, 3214868480
	.fill 48, 4, 3214868480
	.type	__hip_cuid_1c817e67e5b804e1,@object ; @__hip_cuid_1c817e67e5b804e1
	.section	.bss,"aw",@nobits
	.globl	__hip_cuid_1c817e67e5b804e1
__hip_cuid_1c817e67e5b804e1:
	.byte	0                               ; 0x0
	.size	__hip_cuid_1c817e67e5b804e1, 1

	.ident	"AMD clang version 19.0.0git (https://github.com/RadeonOpenCompute/llvm-project roc-6.4.0 25133 c7fe45cf4b819c5991fe208aaa96edf142730f1d)"
	.section	".note.GNU-stack","",@progbits
	.addrsig
	.addrsig_sym __hip_cuid_1c817e67e5b804e1
	.amdgpu_metadata
---
amdhsa.kernels:
  - .args:
      - .actual_access:  read_only
        .address_space:  global
        .offset:         0
        .size:           8
        .value_kind:     global_buffer
      - .actual_access:  read_only
        .address_space:  global
        .offset:         8
        .size:           8
        .value_kind:     global_buffer
      - .actual_access:  read_only
        .address_space:  global
        .offset:         16
        .size:           8
        .value_kind:     global_buffer
      - .actual_access:  read_only
        .address_space:  global
        .offset:         24
        .size:           8
        .value_kind:     global_buffer
      - .actual_access:  read_only
        .address_space:  global
        .offset:         32
        .size:           8
        .value_kind:     global_buffer
      - .offset:         40
        .size:           8
        .value_kind:     by_value
      - .address_space:  global
        .offset:         48
        .size:           8
        .value_kind:     global_buffer
      - .address_space:  global
        .offset:         56
        .size:           8
        .value_kind:     global_buffer
      - .address_space:  global
        .offset:         64
        .size:           8
        .value_kind:     global_buffer
      - .address_space:  global
        .offset:         72
        .size:           8
        .value_kind:     global_buffer
      - .offset:         80
        .size:           4
        .value_kind:     by_value
      - .address_space:  global
        .offset:         88
        .size:           8
        .value_kind:     global_buffer
      - .address_space:  global
        .offset:         96
        .size:           8
        .value_kind:     global_buffer
    .group_segment_fixed_size: 26400
    .kernarg_segment_align: 8
    .kernarg_segment_size: 104
    .language:       OpenCL C
    .language_version:
      - 2
      - 0
    .max_flat_workgroup_size: 110
    .name:           bluestein_single_fwd_len1650_dim1_dp_op_CI_CI
    .private_segment_fixed_size: 708
    .sgpr_count:     46
    .sgpr_spill_count: 0
    .symbol:         bluestein_single_fwd_len1650_dim1_dp_op_CI_CI.kd
    .uniform_work_group_size: 1
    .uses_dynamic_stack: false
    .vgpr_count:     256
    .vgpr_spill_count: 200
    .wavefront_size: 32
    .workgroup_processor_mode: 1
amdhsa.target:   amdgcn-amd-amdhsa--gfx1030
amdhsa.version:
  - 1
  - 2
...

	.end_amdgpu_metadata
